;; amdgpu-corpus repo=ROCm/rocFFT kind=compiled arch=gfx950 opt=O3
	.text
	.amdgcn_target "amdgcn-amd-amdhsa--gfx950"
	.amdhsa_code_object_version 6
	.protected	bluestein_single_back_len924_dim1_sp_op_CI_CI ; -- Begin function bluestein_single_back_len924_dim1_sp_op_CI_CI
	.globl	bluestein_single_back_len924_dim1_sp_op_CI_CI
	.p2align	8
	.type	bluestein_single_back_len924_dim1_sp_op_CI_CI,@function
bluestein_single_back_len924_dim1_sp_op_CI_CI: ; @bluestein_single_back_len924_dim1_sp_op_CI_CI
; %bb.0:
	s_load_dwordx4 s[8:11], s[0:1], 0x28
	v_mul_u32_u24_e32 v1, 0x5d2, v0
	v_mov_b32_e32 v127, 0
	v_add_u32_sdwa v6, s2, v1 dst_sel:DWORD dst_unused:UNUSED_PAD src0_sel:DWORD src1_sel:WORD_1
	v_mov_b32_e32 v7, v127
	s_waitcnt lgkmcnt(0)
	v_cmp_gt_u64_e32 vcc, s[8:9], v[6:7]
	s_and_saveexec_b64 s[2:3], vcc
	s_cbranch_execz .LBB0_31
; %bb.1:
	s_load_dwordx4 s[4:7], s[0:1], 0x18
	s_load_dwordx2 s[14:15], s[0:1], 0x0
	v_mov_b32_e32 v2, s10
	v_mov_b32_e32 v3, s11
	;; [unrolled: 1-line block ×3, first 2 shown]
	s_waitcnt lgkmcnt(0)
	s_load_dwordx4 s[8:11], s[4:5], 0x0
	v_mul_lo_u16_sdwa v1, v1, v4 dst_sel:DWORD dst_unused:UNUSED_PAD src0_sel:WORD_1 src1_sel:DWORD
	v_sub_u16_e32 v126, v0, v1
	v_accvgpr_write_b32 a20, v6
	v_lshlrev_b32_e32 v122, 3, v126
	s_waitcnt lgkmcnt(0)
	v_mad_u64_u32 v[0:1], s[2:3], s10, v6, 0
	v_mov_b32_e32 v4, v1
	v_mad_u64_u32 v[4:5], s[2:3], s11, v6, v[4:5]
	v_mov_b32_e32 v1, v4
	v_mad_u64_u32 v[4:5], s[2:3], s8, v126, 0
	v_mov_b32_e32 v6, v5
	v_mad_u64_u32 v[6:7], s[2:3], s9, v126, v[6:7]
	s_mul_i32 s2, s9, 0x1ce
	s_mul_hi_u32 s3, s8, 0x1ce
	v_mov_b32_e32 v5, v6
	v_lshl_add_u64 v[0:1], v[0:1], 3, v[2:3]
	s_add_i32 s3, s3, s2
	s_mul_i32 s2, s8, 0x1ce
	v_lshl_add_u64 v[0:1], v[4:5], 3, v[0:1]
	s_lshl_b64 s[10:11], s[2:3], 3
	global_load_dwordx2 v[40:41], v122, s[14:15]
	global_load_dwordx2 v[8:9], v[0:1], off
	v_lshl_add_u64 v[0:1], v[0:1], 0, s[10:11]
	global_load_dwordx2 v[4:5], v[0:1], off
	global_load_dwordx2 v[42:43], v122, s[14:15] offset:3696
	s_mul_hi_u32 s5, s8, 0xfffffe5e
	s_mul_i32 s4, s9, 0xfffffe5e
	s_sub_i32 s5, s5, s8
	s_add_i32 s5, s5, s4
	s_mul_i32 s4, s8, 0xfffffe5e
	s_lshl_b64 s[8:9], s[4:5], 3
	v_lshl_add_u64 v[2:3], v[0:1], 0, s[8:9]
	v_mov_b32_e32 v123, v127
	global_load_dwordx2 v[66:67], v122, s[14:15] offset:352
	global_load_dwordx2 v[0:1], v[2:3], off
	v_lshl_add_u64 v[16:17], s[14:15], 0, v[122:123]
	v_lshl_add_u64 v[6:7], v[2:3], 0, s[10:11]
	s_movk_i32 s12, 0x1000
	global_load_dwordx2 v[2:3], v[6:7], off
	global_load_dwordx2 v[64:65], v122, s[14:15] offset:4048
	v_lshl_add_u64 v[10:11], v[6:7], 0, s[8:9]
	v_add_co_u32_e32 v14, vcc, s12, v16
	global_load_dwordx2 v[6:7], v[10:11], off
	global_load_dwordx2 v[62:63], v122, s[14:15] offset:704
	v_lshl_add_u64 v[12:13], v[10:11], 0, s[10:11]
	v_addc_co_u32_e32 v15, vcc, 0, v17, vcc
	global_load_dwordx2 v[10:11], v[12:13], off
	v_accvgpr_write_b32 a0, v16
	global_load_dwordx2 v[58:59], v[14:15], off offset:304
	v_accvgpr_write_b32 a1, v17
	v_lshl_add_u64 v[16:17], v[12:13], 0, s[8:9]
	global_load_dwordx2 v[12:13], v[16:17], off
	global_load_dwordx2 v[54:55], v122, s[14:15] offset:1056
	v_lshl_add_u64 v[16:17], v[16:17], 0, s[10:11]
	global_load_dwordx2 v[18:19], v[16:17], off
	global_load_dwordx2 v[50:51], v[14:15], off offset:656
	global_load_dwordx2 v[48:49], v[14:15], off offset:1008
	v_lshl_add_u64 v[16:17], v[16:17], 0, s[8:9]
	v_lshl_add_u64 v[20:21], v[16:17], 0, s[10:11]
	global_load_dwordx2 v[22:23], v[20:21], off
	global_load_dwordx2 v[24:25], v[16:17], off
	global_load_dwordx2 v[80:81], v122, s[14:15] offset:1408
	global_load_dwordx2 v[78:79], v122, s[14:15] offset:1760
	v_lshl_add_u64 v[16:17], v[20:21], 0, s[8:9]
	global_load_dwordx2 v[20:21], v[16:17], off
	global_load_dwordx2 v[76:77], v[14:15], off offset:1360
	v_lshl_add_u64 v[16:17], v[16:17], 0, s[10:11]
	global_load_dwordx2 v[26:27], v[16:17], off
	global_load_dwordx2 v[74:75], v122, s[14:15] offset:2112
	v_lshl_add_u64 v[16:17], v[16:17], 0, s[8:9]
	global_load_dwordx2 v[28:29], v[16:17], off
	global_load_dwordx2 v[72:73], v[14:15], off offset:1712
	v_lshl_add_u64 v[16:17], v[16:17], 0, s[10:11]
	global_load_dwordx2 v[30:31], v[16:17], off
	global_load_dwordx2 v[52:53], v122, s[14:15] offset:2816
	global_load_dwordx2 v[46:47], v122, s[14:15] offset:3168
	;; [unrolled: 1-line block ×3, first 2 shown]
	v_lshl_add_u64 v[16:17], v[16:17], 0, s[8:9]
	global_load_dwordx2 v[32:33], v[16:17], off
	v_lshl_add_u64 v[16:17], v[16:17], 0, s[10:11]
	global_load_dwordx2 v[34:35], v[16:17], off
	v_lshl_add_u64 v[16:17], v[16:17], 0, s[8:9]
	global_load_dwordx2 v[68:69], v[14:15], off offset:2064
	global_load_dwordx2 v[36:37], v[16:17], off
	v_lshl_add_u64 v[16:17], v[16:17], 0, s[10:11]
	v_add_u32_e32 v44, 0xc00, v122
	s_waitcnt vmcnt(34)
	v_accvgpr_write_b32 a38, v40
	s_waitcnt vmcnt(33)
	v_mul_f32_e32 v38, v9, v41
	v_mul_f32_e32 v39, v8, v41
	v_fmac_f32_e32 v38, v8, v40
	v_accvgpr_write_b32 a39, v41
	v_fma_f32 v39, v9, v40, -v39
	s_waitcnt vmcnt(31)
	v_mul_f32_e32 v8, v5, v43
	v_mul_f32_e32 v9, v4, v43
	global_load_dwordx2 v[40:41], v[16:17], off
	global_load_dwordx2 v[60:61], v[14:15], off offset:2416
	v_fmac_f32_e32 v8, v4, v42
	v_fma_f32 v9, v5, v42, -v9
	v_lshl_add_u64 v[4:5], v[16:17], 0, s[8:9]
	global_load_dwordx2 v[16:17], v[4:5], off
	ds_write_b64 v122, v[8:9] offset:3696
	v_lshl_add_u64 v[4:5], v[4:5], 0, s[10:11]
	global_load_dwordx2 v[8:9], v[4:5], off
	global_load_dwordx2 v[56:57], v[14:15], off offset:2768
	v_accvgpr_write_b32 a30, v42
	v_accvgpr_write_b32 a31, v43
	s_waitcnt vmcnt(34)
	v_mul_f32_e32 v42, v1, v67
	v_mul_f32_e32 v43, v0, v67
	v_fmac_f32_e32 v42, v0, v66
	v_fma_f32 v43, v1, v66, -v43
	s_waitcnt vmcnt(32)
	v_mul_f32_e32 v0, v3, v65
	v_mul_f32_e32 v1, v2, v65
	v_fmac_f32_e32 v0, v2, v64
	v_fma_f32 v1, v3, v64, -v1
	;; [unrolled: 5-line block ×4, first 2 shown]
	ds_write2_b64 v122, v[38:39], v[42:43] offset1:44
	ds_write2_b64 v44, v[0:1], v[6:7] offset0:122 offset1:166
	s_waitcnt vmcnt(26)
	v_mul_f32_e32 v0, v13, v55
	v_mul_f32_e32 v1, v12, v55
	v_fmac_f32_e32 v0, v12, v54
	v_fma_f32 v1, v13, v54, -v1
	ds_write2_b64 v122, v[2:3], v[0:1] offset0:88 offset1:132
	s_waitcnt vmcnt(24)
	v_mul_f32_e32 v0, v18, v51
	v_mul_f32_e32 v2, v19, v51
	v_fma_f32 v3, v19, v50, -v0
	s_waitcnt vmcnt(22)
	v_mul_f32_e32 v6, v23, v49
	v_mul_f32_e32 v0, v22, v49
	v_fmac_f32_e32 v2, v18, v50
	v_fmac_f32_e32 v6, v22, v48
	v_fma_f32 v7, v23, v48, -v0
	v_add_u32_e32 v0, 0x1000, v122
	s_waitcnt vmcnt(20)
	v_mul_f32_e32 v1, v24, v81
	ds_write2_b64 v0, v[2:3], v[6:7] offset0:82 offset1:126
	v_mul_f32_e32 v2, v25, v81
	v_fma_f32 v3, v25, v80, -v1
	s_waitcnt vmcnt(18)
	v_mul_f32_e32 v6, v21, v79
	v_mul_f32_e32 v1, v20, v79
	v_fmac_f32_e32 v2, v24, v80
	v_fmac_f32_e32 v6, v20, v78
	v_fma_f32 v7, v21, v78, -v1
	s_waitcnt vmcnt(16)
	v_mul_f32_e32 v1, v26, v77
	s_load_dwordx2 s[12:13], s[0:1], 0x38
	s_load_dwordx4 s[8:11], s[6:7], 0x0
	ds_write2_b64 v122, v[2:3], v[6:7] offset0:176 offset1:220
	v_fma_f32 v3, v27, v76, -v1
	s_waitcnt vmcnt(14)
	v_mul_f32_e32 v1, v28, v75
	v_mul_f32_e32 v2, v27, v77
	v_fma_f32 v7, v29, v74, -v1
	s_waitcnt vmcnt(12)
	v_mul_f32_e32 v10, v31, v73
	v_mul_f32_e32 v1, v30, v73
	v_fmac_f32_e32 v2, v26, v76
	v_fmac_f32_e32 v10, v30, v72
	v_fma_f32 v11, v31, v72, -v1
	v_mul_f32_e32 v6, v29, v75
	ds_write2_b64 v0, v[2:3], v[10:11] offset0:170 offset1:214
	s_waitcnt vmcnt(8)
	v_mul_f32_e32 v2, v33, v71
	v_mul_f32_e32 v1, v32, v71
	v_fmac_f32_e32 v6, v28, v74
	v_fmac_f32_e32 v2, v32, v70
	v_fma_f32 v3, v33, v70, -v1
	v_add_u32_e32 v1, 0x800, v122
	ds_write2_b64 v1, v[6:7], v[2:3] offset0:8 offset1:52
	s_waitcnt vmcnt(6)
	v_mul_f32_e32 v2, v34, v69
	v_fma_f32 v7, v35, v68, -v2
	s_waitcnt vmcnt(5)
	v_mul_f32_e32 v2, v36, v53
	v_mul_f32_e32 v6, v35, v69
	v_fma_f32 v11, v37, v52, -v2
	v_fmac_f32_e32 v6, v34, v68
	v_mul_f32_e32 v10, v37, v53
	v_fmac_f32_e32 v10, v36, v52
	s_waitcnt vmcnt(3)
	v_mul_f32_e32 v12, v41, v61
	v_mul_f32_e32 v2, v40, v61
	v_fmac_f32_e32 v12, v40, v60
	v_fma_f32 v13, v41, v60, -v2
	v_add_u32_e32 v2, 0x1800, v122
	ds_write2_b64 v2, v[6:7], v[12:13] offset0:2 offset1:46
	s_waitcnt vmcnt(2)
	v_mul_f32_e32 v6, v17, v47
	v_mul_f32_e32 v3, v16, v47
	v_fmac_f32_e32 v6, v16, v46
	v_fma_f32 v7, v17, v46, -v3
	v_accvgpr_write_b32 a26, v66
	v_accvgpr_write_b32 a24, v64
	;; [unrolled: 1-line block ×17, first 2 shown]
	ds_write2_b64 v1, v[10:11], v[6:7] offset0:96 offset1:140
	s_waitcnt vmcnt(0)
	v_mul_f32_e32 v6, v9, v57
	v_mul_f32_e32 v3, v8, v57
	v_accvgpr_write_b32 a14, v56
	v_accvgpr_write_b32 a27, v67
	v_accvgpr_write_b32 a25, v65
	v_accvgpr_write_b32 a23, v63
	v_accvgpr_write_b32 a17, v59
	v_accvgpr_write_b32 a13, v55
	v_accvgpr_write_b32 a9, v51
	v_accvgpr_write_b32 a5, v49
	v_accvgpr_write_b32 a45, v81
	v_accvgpr_write_b32 a43, v79
	v_accvgpr_write_b32 a41, v77
	v_accvgpr_write_b32 a37, v75
	v_accvgpr_write_b32 a35, v73
	v_accvgpr_write_b32 a33, v71
	v_accvgpr_write_b32 a29, v69
	v_accvgpr_write_b32 a11, v53
	v_accvgpr_write_b32 a19, v61
	v_accvgpr_write_b32 a3, v47
	v_fmac_f32_e32 v6, v8, v56
	v_accvgpr_write_b32 a15, v57
	v_fma_f32 v7, v9, v56, -v3
	v_cmp_gt_u16_e64 s[6:7], 22, v126
	ds_write_b64 v122, v[6:7] offset:6864
	s_and_saveexec_b64 s[16:17], s[6:7]
	s_cbranch_execz .LBB0_3
; %bb.2:
	v_accvgpr_read_b32 v11, a1
	v_accvgpr_read_b32 v10, a0
	v_lshl_add_u64 v[4:5], s[4:5], 3, v[4:5]
	global_load_dwordx2 v[8:9], v[10:11], off offset:3520
	v_add_co_u32_e32 v10, vcc, 0x1000, v10
	global_load_dwordx2 v[6:7], v[4:5], off
	v_lshl_add_u64 v[4:5], s[2:3], 3, v[4:5]
	v_addc_co_u32_e32 v11, vcc, 0, v11, vcc
	global_load_dwordx2 v[4:5], v[4:5], off
	s_waitcnt vmcnt(1)
	v_mul_f32_e32 v12, v7, v9
	global_load_dwordx2 v[10:11], v[10:11], off offset:3120
	v_mul_f32_e32 v3, v6, v9
	v_fmac_f32_e32 v12, v6, v8
	v_fma_f32 v13, v7, v8, -v3
	ds_write_b64 v122, v[12:13] offset:3520
	s_waitcnt vmcnt(0)
	v_mul_f32_e32 v6, v5, v11
	v_mul_f32_e32 v3, v4, v11
	v_fmac_f32_e32 v6, v4, v10
	v_fma_f32 v7, v5, v10, -v3
	ds_write_b64 v122, v[6:7] offset:7216
.LBB0_3:
	s_or_b64 exec, exec, s[16:17]
	s_waitcnt lgkmcnt(0)
	; wave barrier
	s_waitcnt lgkmcnt(0)
	ds_read2_b64 v[20:23], v122 offset1:44
	ds_read2_b64 v[36:39], v1 offset0:206 offset1:250
	ds_read2_b64 v[16:19], v122 offset0:88 offset1:132
	;; [unrolled: 1-line block ×6, first 2 shown]
	v_add_u32_e32 v0, 0x1400, v122
	ds_read2_b64 v[24:27], v0 offset0:86 offset1:130
	ds_read2_b64 v[4:7], v1 offset0:96 offset1:140
	;; [unrolled: 1-line block ×3, first 2 shown]
                                        ; implicit-def: $vgpr40
                                        ; implicit-def: $vgpr42
	s_and_saveexec_b64 s[2:3], s[6:7]
	s_cbranch_execz .LBB0_5
; %bb.4:
	ds_read_b64 v[40:41], v122 offset:3520
	ds_read_b64 v[42:43], v122 offset:7216
.LBB0_5:
	s_or_b64 exec, exec, s[2:3]
	s_mov_b64 s[2:3], 0x58
	v_lshl_add_u64 v[54:55], v[126:127], 0, s[2:3]
	s_mov_b64 s[2:3], 0x84
	s_waitcnt lgkmcnt(8)
	v_pk_add_f32 v[36:37], v[20:21], v[36:37] neg_lo:[0,1] neg_hi:[0,1]
	v_lshl_add_u64 v[62:63], v[126:127], 0, 44
	v_lshl_add_u64 v[50:51], v[126:127], 0, s[2:3]
	s_mov_b64 s[2:3], 0xb0
	v_pk_add_f32 v[38:39], v[22:23], v[38:39] neg_lo:[0,1] neg_hi:[0,1]
	s_waitcnt lgkmcnt(6)
	v_pk_add_f32 v[60:61], v[18:19], v[34:35] neg_lo:[0,1] neg_hi:[0,1]
	s_waitcnt lgkmcnt(2)
	v_pk_add_f32 v[68:69], v[10:11], v[26:27] neg_lo:[0,1] neg_hi:[0,1]
	v_lshlrev_b32_e32 v26, 4, v126
	v_pk_fma_f32 v[34:35], v[20:21], 2.0, v[36:37] op_sel_hi:[1,0,1] neg_lo:[0,0,1] neg_hi:[0,0,1]
	v_lshl_add_u64 v[48:49], v[126:127], 0, s[2:3]
	s_mov_b64 s[2:3], 0xdc
	v_pk_add_f32 v[32:33], v[16:17], v[32:33] neg_lo:[0,1] neg_hi:[0,1]
	s_waitcnt lgkmcnt(0)
	; wave barrier
	s_waitcnt lgkmcnt(0)
	ds_write_b128 v26, v[34:37]
	v_lshlrev_b32_e32 v20, 4, v62
	v_pk_fma_f32 v[36:37], v[22:23], 2.0, v[38:39] op_sel_hi:[1,0,1] neg_lo:[0,0,1] neg_hi:[0,0,1]
	v_lshl_add_u64 v[46:47], v[126:127], 0, s[2:3]
	s_mov_b64 s[2:3], 0x108
	v_lshlrev_b32_e32 v49, 1, v126
	v_pk_add_f32 v[28:29], v[12:13], v[28:29] neg_lo:[0,1] neg_hi:[0,1]
	v_pk_add_f32 v[66:67], v[14:15], v[30:31] neg_lo:[0,1] neg_hi:[0,1]
	;; [unrolled: 1-line block ×3, first 2 shown]
	v_accvgpr_write_b32 a47, v20
	ds_write_b128 v20, v[36:39]
	v_lshlrev_b32_e32 v20, 4, v54
	v_pk_fma_f32 v[30:31], v[16:17], 2.0, v[32:33] op_sel_hi:[1,0,1] neg_lo:[0,0,1] neg_hi:[0,0,1]
	v_lshlrev_b32_e32 v16, 4, v50
	v_pk_fma_f32 v[58:59], v[18:19], 2.0, v[60:61] op_sel_hi:[1,0,1] neg_lo:[0,0,1] neg_hi:[0,0,1]
	s_load_dwordx2 s[0:1], s[0:1], 0x8
	v_lshl_add_u64 v[44:45], v[126:127], 0, s[2:3]
	v_accvgpr_write_b32 a46, v26
	ds_write_b128 v20, v[30:33]
	v_accvgpr_write_b32 a49, v16
	ds_write_b128 v16, v[58:61]
	v_lshlrev_b32_e32 v16, 4, v48
	v_pk_fma_f32 v[26:27], v[12:13], 2.0, v[28:29] op_sel_hi:[1,0,1] neg_lo:[0,0,1] neg_hi:[0,0,1]
	v_lshlrev_b32_e32 v12, 4, v46
	v_pk_fma_f32 v[64:65], v[14:15], 2.0, v[66:67] op_sel_hi:[1,0,1] neg_lo:[0,0,1] neg_hi:[0,0,1]
	v_pk_fma_f32 v[22:23], v[8:9], 2.0, v[24:25] op_sel_hi:[1,0,1] neg_lo:[0,0,1] neg_hi:[0,0,1]
	v_add_u32_e32 v8, 0x268, v49
	s_mov_b64 s[2:3], 0x1b8
	v_pk_add_f32 v[70:71], v[4:5], v[0:1] neg_lo:[0,1] neg_hi:[0,1]
	ds_write_b128 v16, v[26:29]
	v_accvgpr_write_b32 a56, v12
	ds_write_b128 v12, v[64:67]
	v_lshlrev_b32_e32 v12, 4, v44
	v_accvgpr_write_b32 a73, v8
	v_pk_fma_f32 v[66:67], v[10:11], 2.0, v[68:69] op_sel_hi:[1,0,1] neg_lo:[0,0,1] neg_hi:[0,0,1]
	v_lshlrev_b32_e32 v8, 3, v49
	v_lshl_add_u64 v[52:53], v[126:127], 0, s[2:3]
	ds_write_b128 v12, v[22:25]
	ds_write_b128 v8, v[66:69] offset:4928
	v_pk_fma_f32 v[68:69], v[4:5], 2.0, v[70:71] op_sel_hi:[1,0,1] neg_lo:[0,0,1] neg_hi:[0,0,1]
	v_add_u32_e32 v4, 0x318, v49
	v_pk_add_f32 v[72:73], v[6:7], v[2:3] neg_lo:[0,1] neg_hi:[0,1]
	v_pk_add_f32 v[2:3], v[40:41], v[42:43] neg_lo:[0,1] neg_hi:[0,1]
	v_add_u32_e32 v9, 0x2c0, v49
	v_accvgpr_write_b32 a78, v4
	v_lshlrev_b32_e32 v4, 4, v52
	v_pk_fma_f32 v[0:1], v[40:41], 2.0, v[2:3] op_sel_hi:[1,0,1] neg_lo:[0,0,1] neg_hi:[0,0,1]
	v_lshlrev_b32_e32 v56, 1, v62
	v_lshlrev_b32_e32 v51, 1, v54
	v_accvgpr_write_b32 a48, v20
	v_lshlrev_b32_e32 v53, 1, v50
	v_lshlrev_b32_e32 v55, 1, v48
	v_accvgpr_write_b32 a50, v16
	;; [unrolled: 3-line block ×3, first 2 shown]
	v_accvgpr_write_b32 a77, v9
	ds_write_b128 v8, v[68:71] offset:5632
	v_pk_fma_f32 v[70:71], v[6:7], 2.0, v[72:73] op_sel_hi:[1,0,1] neg_lo:[0,0,1] neg_hi:[0,0,1]
	v_accvgpr_write_b32 a58, v4
	ds_write_b128 v8, v[70:73] offset:6336
	s_and_saveexec_b64 s[2:3], s[6:7]
	s_cbranch_execz .LBB0_7
; %bb.6:
	v_accvgpr_read_b32 v4, a58
	ds_write_b128 v4, v[0:3]
.LBB0_7:
	s_or_b64 exec, exec, s[2:3]
	v_add_u32_e32 v4, 0x800, v122
	v_add_u32_e32 v5, 0x1000, v122
	s_waitcnt lgkmcnt(0)
	; wave barrier
	s_waitcnt lgkmcnt(0)
	ds_read2_b64 v[36:39], v122 offset1:44
	ds_read2_b64 v[40:43], v4 offset0:206 offset1:250
	ds_read2_b64 v[28:31], v122 offset0:88 offset1:132
	;; [unrolled: 1-line block ×6, first 2 shown]
	v_add_u32_e32 v5, 0x1400, v122
	v_add_u32_e32 v8, 0x1800, v122
	ds_read2_b64 v[16:19], v5 offset0:86 offset1:130
	ds_read2_b64 v[4:7], v4 offset0:96 offset1:140
	;; [unrolled: 1-line block ×3, first 2 shown]
	s_and_saveexec_b64 s[2:3], s[6:7]
	s_cbranch_execz .LBB0_9
; %bb.8:
	ds_read_b64 v[0:1], v122 offset:3520
	ds_read_b64 v[2:3], v122 offset:7216
.LBB0_9:
	s_or_b64 exec, exec, s[2:3]
	v_and_b32_e32 v123, 1, v126
	v_lshlrev_b32_e32 v57, 3, v123
	global_load_dwordx2 v[170:171], v57, s[0:1]
	s_movk_i32 s2, 0x7c
	s_waitcnt lgkmcnt(0)
	; wave barrier
	s_waitcnt lgkmcnt(0)
	s_movk_i32 s4, 0x3fc
	s_waitcnt vmcnt(0)
	v_pk_mul_f32 v[58:59], v[2:3], v[170:171] op_sel:[1,0]
	s_nop 0
	v_pk_fma_f32 v[60:61], v[2:3], v[170:171], v[58:59] op_sel:[0,0,1] op_sel_hi:[1,1,0] neg_lo:[0,0,1] neg_hi:[0,0,1]
	v_pk_fma_f32 v[2:3], v[2:3], v[170:171], v[58:59] op_sel:[0,0,1] op_sel_hi:[0,1,0]
	v_and_or_b32 v2, v49, s2, v123
	v_mov_b32_e32 v61, v3
	v_lshlrev_b32_e32 v49, 3, v2
	v_pk_mul_f32 v[2:3], v[40:41], v[170:171] op_sel:[0,1]
	s_movk_i32 s2, 0xfc
	v_pk_fma_f32 v[58:59], v[40:41], v[170:171], v[2:3] op_sel:[0,0,1] op_sel_hi:[1,1,0] neg_lo:[0,0,1] neg_hi:[0,0,1]
	v_pk_fma_f32 v[2:3], v[40:41], v[170:171], v[2:3] op_sel:[0,0,1] op_sel_hi:[1,0,0]
	v_pk_add_f32 v[114:115], v[0:1], v[60:61] neg_lo:[0,1] neg_hi:[0,1]
	v_mov_b32_e32 v59, v3
	v_pk_add_f32 v[2:3], v[36:37], v[58:59] neg_lo:[0,1] neg_hi:[0,1]
	v_accvgpr_write_b32 a7, v49
	v_pk_fma_f32 v[36:37], v[36:37], 2.0, v[2:3] op_sel_hi:[1,0,1] neg_lo:[0,0,1] neg_hi:[0,0,1]
	ds_write2_b64 v49, v[36:37], v[2:3] offset1:2
	v_and_or_b32 v2, v56, s2, v123
	v_lshlrev_b32_e32 v40, 3, v2
	v_pk_mul_f32 v[2:3], v[42:43], v[170:171] op_sel:[0,1]
	s_movk_i32 s2, 0x1fc
	v_pk_fma_f32 v[36:37], v[42:43], v[170:171], v[2:3] op_sel:[0,0,1] op_sel_hi:[1,1,0] neg_lo:[0,0,1] neg_hi:[0,0,1]
	v_pk_fma_f32 v[2:3], v[42:43], v[170:171], v[2:3] op_sel:[0,0,1] op_sel_hi:[1,0,0]
	v_accvgpr_write_b32 a21, v40
	v_mov_b32_e32 v37, v3
	v_pk_add_f32 v[2:3], v[38:39], v[36:37] neg_lo:[0,1] neg_hi:[0,1]
	s_nop 0
	v_pk_fma_f32 v[36:37], v[38:39], 2.0, v[2:3] op_sel_hi:[1,0,1] neg_lo:[0,0,1] neg_hi:[0,0,1]
	ds_write2_b64 v40, v[36:37], v[2:3] offset1:2
	v_and_or_b32 v2, v51, s2, v123
	v_lshlrev_b32_e32 v38, 3, v2
	v_pk_mul_f32 v[2:3], v[32:33], v[170:171] op_sel:[0,1]
	v_accvgpr_write_b32 a51, v38
	v_pk_fma_f32 v[36:37], v[32:33], v[170:171], v[2:3] op_sel:[0,0,1] op_sel_hi:[1,1,0] neg_lo:[0,0,1] neg_hi:[0,0,1]
	v_pk_fma_f32 v[2:3], v[32:33], v[170:171], v[2:3] op_sel:[0,0,1] op_sel_hi:[1,0,0]
	s_nop 0
	v_mov_b32_e32 v37, v3
	v_pk_add_f32 v[2:3], v[28:29], v[36:37] neg_lo:[0,1] neg_hi:[0,1]
	s_nop 0
	v_pk_fma_f32 v[28:29], v[28:29], 2.0, v[2:3] op_sel_hi:[1,0,1] neg_lo:[0,0,1] neg_hi:[0,0,1]
	ds_write2_b64 v38, v[28:29], v[2:3] offset1:2
	v_and_or_b32 v2, v53, s2, v123
	v_lshlrev_b32_e32 v32, 3, v2
	v_pk_mul_f32 v[2:3], v[34:35], v[170:171] op_sel:[0,1]
	v_accvgpr_write_b32 a57, v32
	v_pk_fma_f32 v[28:29], v[34:35], v[170:171], v[2:3] op_sel:[0,0,1] op_sel_hi:[1,1,0] neg_lo:[0,0,1] neg_hi:[0,0,1]
	v_pk_fma_f32 v[2:3], v[34:35], v[170:171], v[2:3] op_sel:[0,0,1] op_sel_hi:[1,0,0]
	s_nop 0
	v_mov_b32_e32 v29, v3
	v_pk_add_f32 v[2:3], v[30:31], v[28:29] neg_lo:[0,1] neg_hi:[0,1]
	s_nop 0
	v_pk_fma_f32 v[28:29], v[30:31], 2.0, v[2:3] op_sel_hi:[1,0,1] neg_lo:[0,0,1] neg_hi:[0,0,1]
	ds_write2_b64 v32, v[28:29], v[2:3] offset1:2
	v_and_or_b32 v2, v55, s2, v123
	v_lshlrev_b32_e32 v30, 3, v2
	v_pk_mul_f32 v[2:3], v[24:25], v[170:171] op_sel:[0,1]
	s_movk_i32 s2, 0x2fc
	v_pk_fma_f32 v[28:29], v[24:25], v[170:171], v[2:3] op_sel:[0,0,1] op_sel_hi:[1,1,0] neg_lo:[0,0,1] neg_hi:[0,0,1]
	v_pk_fma_f32 v[2:3], v[24:25], v[170:171], v[2:3] op_sel:[0,0,1] op_sel_hi:[1,0,0]
	v_accvgpr_write_b32 a59, v30
	v_mov_b32_e32 v29, v3
	v_pk_add_f32 v[2:3], v[20:21], v[28:29] neg_lo:[0,1] neg_hi:[0,1]
	s_nop 0
	v_pk_fma_f32 v[20:21], v[20:21], 2.0, v[2:3] op_sel_hi:[1,0,1] neg_lo:[0,0,1] neg_hi:[0,0,1]
	ds_write2_b64 v30, v[20:21], v[2:3] offset1:2
	v_and_or_b32 v2, v47, s4, v123
	v_lshlrev_b32_e32 v24, 3, v2
	v_pk_mul_f32 v[2:3], v[26:27], v[170:171] op_sel:[0,1]
	v_accvgpr_write_b32 a61, v24
	v_pk_fma_f32 v[20:21], v[26:27], v[170:171], v[2:3] op_sel:[0,0,1] op_sel_hi:[1,1,0] neg_lo:[0,0,1] neg_hi:[0,0,1]
	v_pk_fma_f32 v[2:3], v[26:27], v[170:171], v[2:3] op_sel:[0,0,1] op_sel_hi:[1,0,0]
	s_nop 0
	v_mov_b32_e32 v21, v3
	v_pk_add_f32 v[2:3], v[22:23], v[20:21] neg_lo:[0,1] neg_hi:[0,1]
	s_nop 0
	v_pk_fma_f32 v[20:21], v[22:23], 2.0, v[2:3] op_sel_hi:[1,0,1] neg_lo:[0,0,1] neg_hi:[0,0,1]
	ds_write2_b64 v24, v[20:21], v[2:3] offset1:2
	v_and_or_b32 v2, v45, s2, v123
	v_lshlrev_b32_e32 v22, 3, v2
	v_pk_mul_f32 v[2:3], v[16:17], v[170:171] op_sel:[0,1]
	v_accvgpr_write_b32 a66, v22
	v_pk_fma_f32 v[20:21], v[16:17], v[170:171], v[2:3] op_sel:[0,0,1] op_sel_hi:[1,1,0] neg_lo:[0,0,1] neg_hi:[0,0,1]
	v_pk_fma_f32 v[2:3], v[16:17], v[170:171], v[2:3] op_sel:[0,0,1] op_sel_hi:[1,0,0]
	s_nop 0
	v_mov_b32_e32 v21, v3
	v_pk_add_f32 v[2:3], v[12:13], v[20:21] neg_lo:[0,1] neg_hi:[0,1]
	s_nop 0
	v_pk_fma_f32 v[12:13], v[12:13], 2.0, v[2:3] op_sel_hi:[1,0,1] neg_lo:[0,0,1] neg_hi:[0,0,1]
	ds_write2_b64 v22, v[12:13], v[2:3] offset1:2
	v_accvgpr_read_b32 v2, a73
	v_and_or_b32 v2, v2, s2, v123
	v_lshlrev_b32_e32 v16, 3, v2
	v_pk_mul_f32 v[2:3], v[18:19], v[170:171] op_sel:[0,1]
	v_accvgpr_write_b32 a67, v16
	v_pk_fma_f32 v[12:13], v[18:19], v[170:171], v[2:3] op_sel:[0,0,1] op_sel_hi:[1,1,0] neg_lo:[0,0,1] neg_hi:[0,0,1]
	v_pk_fma_f32 v[2:3], v[18:19], v[170:171], v[2:3] op_sel:[0,0,1] op_sel_hi:[1,0,0]
	s_nop 0
	v_mov_b32_e32 v13, v3
	v_pk_add_f32 v[2:3], v[14:15], v[12:13] neg_lo:[0,1] neg_hi:[0,1]
	s_nop 0
	v_pk_fma_f32 v[12:13], v[14:15], 2.0, v[2:3] op_sel_hi:[1,0,1] neg_lo:[0,0,1] neg_hi:[0,0,1]
	ds_write2_b64 v16, v[12:13], v[2:3] offset1:2
	v_accvgpr_read_b32 v2, a77
	;; [unrolled: 13-line block ×3, first 2 shown]
	v_and_or_b32 v2, v2, s4, v123
	v_lshlrev_b32_e32 v8, 3, v2
	v_pk_mul_f32 v[2:3], v[10:11], v[170:171] op_sel:[0,1]
	v_accvgpr_write_b32 a83, v8
	v_pk_fma_f32 v[4:5], v[10:11], v[170:171], v[2:3] op_sel:[0,0,1] op_sel_hi:[1,1,0] neg_lo:[0,0,1] neg_hi:[0,0,1]
	v_pk_fma_f32 v[2:3], v[10:11], v[170:171], v[2:3] op_sel:[0,0,1] op_sel_hi:[1,0,0]
	s_nop 0
	v_mov_b32_e32 v5, v3
	v_pk_add_f32 v[2:3], v[6:7], v[4:5] neg_lo:[0,1] neg_hi:[0,1]
	s_nop 0
	v_pk_fma_f32 v[4:5], v[6:7], 2.0, v[2:3] op_sel_hi:[1,0,1] neg_lo:[0,0,1] neg_hi:[0,0,1]
	ds_write2_b64 v8, v[4:5], v[2:3] offset1:2
	v_lshlrev_b32_e32 v2, 1, v52
	v_accvgpr_write_b32 a84, v2
	s_and_saveexec_b64 s[2:3], s[6:7]
	s_cbranch_execz .LBB0_11
; %bb.10:
	v_accvgpr_read_b32 v2, a84
	v_and_or_b32 v2, v2, s4, v123
	v_lshlrev_b32_e32 v2, 3, v2
	v_pk_fma_f32 v[0:1], v[0:1], 2.0, v[114:115] op_sel_hi:[1,0,1] neg_lo:[0,0,1] neg_hi:[0,0,1]
	ds_write2_b64 v2, v[0:1], v[114:115] offset1:2
.LBB0_11:
	s_or_b64 exec, exec, s[2:3]
	v_and_b32_e32 v38, 3, v126
	v_lshlrev_b32_e32 v0, 4, v38
	s_waitcnt lgkmcnt(0)
	; wave barrier
	s_waitcnt lgkmcnt(0)
	global_load_dwordx4 v[20:23], v0, s[0:1] offset:16
	v_lshrrev_b32_e32 v8, 2, v126
	v_lshrrev_b32_e32 v9, 2, v62
	;; [unrolled: 1-line block ×7, first 2 shown]
	v_add_u32_e32 v74, 0x800, v122
	ds_read_b64 v[36:37], v122 offset:7040
	ds_read2_b64 v[0:3], v122 offset0:176 offset1:220
	v_add_u32_e32 v63, 0x1000, v122
	v_add_u32_e32 v68, 0x1800, v122
	ds_read2_b64 v[4:7], v122 offset0:88 offset1:132
	v_mul_u32_u24_e32 v39, 12, v8
	v_mul_u32_u24_e32 v40, 12, v9
	;; [unrolled: 1-line block ×7, first 2 shown]
	ds_read2_b64 v[8:11], v74 offset0:8 offset1:52
	ds_read2_b64 v[12:15], v63 offset0:16 offset1:60
	;; [unrolled: 1-line block ×6, first 2 shown]
	v_or_b32_e32 v39, v39, v38
	v_or_b32_e32 v40, v40, v38
	;; [unrolled: 1-line block ×7, first 2 shown]
	v_lshlrev_b32_e32 v73, 3, v39
	v_lshlrev_b32_e32 v72, 3, v40
	;; [unrolled: 1-line block ×7, first 2 shown]
	s_mov_b32 s2, 0x3f5db3d7
	s_movk_i32 s4, 0xab
	v_accvgpr_write_b32 a69, v55
	v_accvgpr_write_b32 a68, v41
	;; [unrolled: 1-line block ×7, first 2 shown]
	s_mov_b32 s18, 0x3eae86e6
	s_mov_b32 s22, 0xbf08b237
	;; [unrolled: 1-line block ×9, first 2 shown]
	s_waitcnt vmcnt(0) lgkmcnt(4)
	v_pk_mul_f32 v[38:39], v[14:15], v[20:21] op_sel:[0,1]
	v_mov_b32_e32 v40, v23
	v_pk_mul_f32 v[42:43], v[12:13], v[20:21] op_sel:[0,1]
	v_pk_fma_f32 v[50:51], v[14:15], v[20:21], v[38:39] op_sel:[0,0,1] op_sel_hi:[1,1,0] neg_lo:[0,0,1] neg_hi:[0,0,1]
	v_pk_fma_f32 v[14:15], v[14:15], v[20:21], v[38:39] op_sel:[0,0,1] op_sel_hi:[1,0,0]
	v_pk_mul_f32 v[38:39], v[36:37], v[40:41] op_sel_hi:[1,0]
	v_pk_fma_f32 v[52:53], v[12:13], v[20:21], v[42:43] op_sel:[0,0,1] op_sel_hi:[1,1,0] neg_lo:[0,0,1] neg_hi:[0,0,1]
	v_pk_fma_f32 v[12:13], v[12:13], v[20:21], v[42:43] op_sel:[0,0,1] op_sel_hi:[1,0,0]
	s_waitcnt lgkmcnt(3)
	v_pk_mul_f32 v[42:43], v[18:19], v[40:41] op_sel_hi:[1,0]
	s_waitcnt lgkmcnt(2)
	v_pk_mul_f32 v[46:47], v[24:25], v[20:21] op_sel:[0,1]
	v_mov_b32_e32 v51, v15
	v_pk_fma_f32 v[60:61], v[36:37], v[22:23], v[38:39] op_sel:[0,0,1] op_sel_hi:[1,1,0] neg_lo:[0,0,1] neg_hi:[0,0,1]
	v_pk_fma_f32 v[14:15], v[36:37], v[22:23], v[38:39] op_sel:[0,0,1] op_sel_hi:[1,0,0]
	v_mov_b32_e32 v53, v13
	v_pk_fma_f32 v[36:37], v[18:19], v[22:23], v[42:43] op_sel:[0,0,1] op_sel_hi:[1,1,0] neg_lo:[0,0,1] neg_hi:[0,0,1]
	v_pk_fma_f32 v[12:13], v[18:19], v[22:23], v[42:43] op_sel:[0,0,1] op_sel_hi:[1,0,0]
	s_waitcnt lgkmcnt(0)
	v_pk_mul_f32 v[48:49], v[34:35], v[20:21] op_sel:[0,1]
	v_pk_fma_f32 v[58:59], v[24:25], v[20:21], v[46:47] op_sel:[0,0,1] op_sel_hi:[1,1,0] neg_lo:[0,0,1] neg_hi:[0,0,1]
	v_pk_fma_f32 v[24:25], v[24:25], v[20:21], v[46:47] op_sel:[0,0,1] op_sel_hi:[1,0,0]
	v_pk_mul_f32 v[46:47], v[30:31], v[40:41] op_sel_hi:[1,0]
	v_mov_b32_e32 v37, v13
	v_pk_add_f32 v[12:13], v[2:3], v[52:53]
	v_pk_mul_f32 v[44:45], v[26:27], v[20:21] op_sel:[0,1]
	v_mov_b32_e32 v59, v25
	v_pk_fma_f32 v[24:25], v[30:31], v[22:23], v[46:47] op_sel:[0,0,1] op_sel_hi:[1,1,0] neg_lo:[0,0,1] neg_hi:[0,0,1]
	v_pk_fma_f32 v[18:19], v[30:31], v[22:23], v[46:47] op_sel:[0,0,1] op_sel_hi:[1,0,0]
	v_pk_add_f32 v[38:39], v[12:13], v[36:37]
	v_pk_fma_f32 v[46:47], v[34:35], v[20:21], v[48:49] op_sel:[0,0,1] op_sel_hi:[1,1,0] neg_lo:[0,0,1] neg_hi:[0,0,1]
	v_pk_fma_f32 v[12:13], v[34:35], v[20:21], v[48:49] op_sel:[0,0,1] op_sel_hi:[1,0,0]
	v_pk_fma_f32 v[56:57], v[26:27], v[20:21], v[44:45] op_sel:[0,0,1] op_sel_hi:[1,1,0] neg_lo:[0,0,1] neg_hi:[0,0,1]
	v_pk_fma_f32 v[26:27], v[26:27], v[20:21], v[44:45] op_sel:[0,0,1] op_sel_hi:[1,0,0]
	v_pk_mul_f32 v[44:45], v[16:17], v[40:41] op_sel_hi:[1,0]
	v_mov_b32_e32 v47, v13
	v_pk_mul_f32 v[12:13], v[28:29], v[40:41] op_sel_hi:[1,0]
	v_mov_b32_e32 v57, v27
	v_pk_fma_f32 v[26:27], v[16:17], v[22:23], v[44:45] op_sel:[0,0,1] op_sel_hi:[1,1,0] neg_lo:[0,0,1] neg_hi:[0,0,1]
	v_pk_fma_f32 v[16:17], v[16:17], v[22:23], v[44:45] op_sel:[0,0,1] op_sel_hi:[1,0,0]
	v_pk_fma_f32 v[34:35], v[28:29], v[22:23], v[12:13] op_sel:[0,0,1] op_sel_hi:[1,1,0] neg_lo:[0,0,1] neg_hi:[0,0,1]
	v_pk_fma_f32 v[12:13], v[28:29], v[22:23], v[12:13] op_sel:[0,0,1] op_sel_hi:[1,0,0]
	v_mov_b32_e32 v61, v15
	v_pk_add_f32 v[14:15], v[8:9], v[50:51]
	v_mov_b32_e32 v27, v17
	v_pk_add_f32 v[16:17], v[0:1], v[56:57]
	;; [unrolled: 2-line block ×4, first 2 shown]
	v_pk_add_f32 v[30:31], v[14:15], v[60:61]
	v_pk_add_f32 v[42:43], v[16:17], v[26:27]
	;; [unrolled: 1-line block ×4, first 2 shown]
	ds_read2_b64 v[12:15], v122 offset1:44
	ds_read2_b64 v[16:19], v63 offset0:104 offset1:148
	v_pk_mul_f32 v[48:49], v[32:33], v[20:21] op_sel:[0,1]
	s_waitcnt lgkmcnt(0)
	v_pk_fma_f32 v[64:65], v[32:33], v[20:21], v[48:49] op_sel:[0,0,1] op_sel_hi:[1,1,0] neg_lo:[0,0,1] neg_hi:[0,0,1]
	v_pk_fma_f32 v[32:33], v[32:33], v[20:21], v[48:49] op_sel:[0,0,1] op_sel_hi:[1,0,0]
	; wave barrier
	s_nop 0
	v_mov_b32_e32 v65, v33
	v_pk_mul_f32 v[32:33], v[18:19], v[40:41] op_sel_hi:[1,0]
	s_nop 0
	v_pk_fma_f32 v[48:49], v[18:19], v[22:23], v[32:33] op_sel:[0,0,1] op_sel_hi:[1,1,0] neg_lo:[0,0,1] neg_hi:[0,0,1]
	v_pk_fma_f32 v[18:19], v[18:19], v[22:23], v[32:33] op_sel:[0,0,1] op_sel_hi:[1,0,0]
	v_pk_mul_f32 v[32:33], v[10:11], v[20:21] op_sel:[0,1]
	v_mov_b32_e32 v49, v19
	v_pk_fma_f32 v[66:67], v[10:11], v[20:21], v[32:33] op_sel:[0,0,1] op_sel_hi:[1,1,0] neg_lo:[0,0,1] neg_hi:[0,0,1]
	v_pk_fma_f32 v[10:11], v[10:11], v[20:21], v[32:33] op_sel:[0,0,1] op_sel_hi:[1,0,0]
	v_pk_add_f32 v[18:19], v[14:15], v[64:65]
	v_mov_b32_e32 v67, v11
	v_pk_mul_f32 v[10:11], v[16:17], v[40:41] op_sel_hi:[1,0]
	v_pk_add_f32 v[18:19], v[18:19], v[48:49]
	v_pk_fma_f32 v[32:33], v[16:17], v[22:23], v[10:11] op_sel:[0,0,1] op_sel_hi:[1,1,0] neg_lo:[0,0,1] neg_hi:[0,0,1]
	v_pk_fma_f32 v[10:11], v[16:17], v[22:23], v[10:11] op_sel:[0,0,1] op_sel_hi:[1,0,0]
	s_nop 0
	v_mov_b32_e32 v33, v11
	v_pk_add_f32 v[16:17], v[66:67], v[32:33]
	v_pk_add_f32 v[10:11], v[12:13], v[66:67]
	v_pk_fma_f32 v[12:13], v[16:17], 0.5, v[12:13] op_sel_hi:[1,0,1] neg_lo:[1,0,0] neg_hi:[1,0,0]
	v_pk_add_f32 v[16:17], v[66:67], v[32:33] neg_lo:[0,1] neg_hi:[0,1]
	v_pk_add_f32 v[10:11], v[10:11], v[32:33]
	v_pk_mul_f32 v[16:17], v[16:17], s[2:3] op_sel_hi:[1,0]
	s_nop 0
	v_pk_add_f32 v[32:33], v[12:13], v[16:17] op_sel:[0,1] op_sel_hi:[1,0]
	v_pk_add_f32 v[12:13], v[12:13], v[16:17] op_sel:[0,1] op_sel_hi:[1,0] neg_lo:[0,1] neg_hi:[0,1]
	v_mov_b32_e32 v16, v32
	v_mov_b32_e32 v17, v13
	;; [unrolled: 1-line block ×3, first 2 shown]
	ds_write2_b64 v73, v[10:11], v[16:17] offset1:4
	ds_write_b64 v73, v[12:13] offset:64
	v_pk_add_f32 v[10:11], v[64:65], v[48:49]
	v_pk_add_f32 v[12:13], v[64:65], v[48:49] neg_lo:[0,1] neg_hi:[0,1]
	v_pk_fma_f32 v[10:11], v[10:11], 0.5, v[14:15] op_sel_hi:[1,0,1] neg_lo:[1,0,0] neg_hi:[1,0,0]
	v_pk_mul_f32 v[12:13], v[12:13], s[2:3] op_sel_hi:[1,0]
	s_nop 0
	v_pk_add_f32 v[14:15], v[10:11], v[12:13] op_sel:[0,1] op_sel_hi:[1,0]
	v_pk_add_f32 v[10:11], v[10:11], v[12:13] op_sel:[0,1] op_sel_hi:[1,0] neg_lo:[0,1] neg_hi:[0,1]
	v_mov_b32_e32 v12, v14
	v_mov_b32_e32 v13, v11
	v_mov_b32_e32 v11, v15
	ds_write_b64 v72, v[10:11] offset:64
	v_pk_add_f32 v[10:11], v[46:47], v[34:35]
	ds_write2_b64 v72, v[18:19], v[12:13] offset1:4
	v_pk_fma_f32 v[4:5], v[10:11], 0.5, v[4:5] op_sel_hi:[1,0,1] neg_lo:[1,0,0] neg_hi:[1,0,0]
	v_pk_add_f32 v[10:11], v[46:47], v[34:35] neg_lo:[0,1] neg_hi:[0,1]
	s_nop 0
	v_pk_mul_f32 v[10:11], v[10:11], s[2:3] op_sel_hi:[1,0]
	s_nop 0
	v_pk_add_f32 v[12:13], v[4:5], v[10:11] op_sel:[0,1] op_sel_hi:[1,0]
	v_pk_add_f32 v[4:5], v[4:5], v[10:11] op_sel:[0,1] op_sel_hi:[1,0] neg_lo:[0,1] neg_hi:[0,1]
	v_mov_b32_e32 v10, v12
	v_mov_b32_e32 v11, v5
	v_mov_b32_e32 v5, v13
	ds_write_b64 v71, v[4:5] offset:64
	v_pk_add_f32 v[4:5], v[58:59], v[24:25]
	ds_write2_b64 v71, v[28:29], v[10:11] offset1:4
	v_pk_fma_f32 v[4:5], v[4:5], 0.5, v[6:7] op_sel_hi:[1,0,1] neg_lo:[1,0,0] neg_hi:[1,0,0]
	v_pk_add_f32 v[6:7], v[58:59], v[24:25] neg_lo:[0,1] neg_hi:[0,1]
	s_nop 0
	;; [unrolled: 13-line block ×4, first 2 shown]
	v_pk_mul_f32 v[2:3], v[2:3], s[2:3] op_sel_hi:[1,0]
	s_nop 0
	v_pk_add_f32 v[4:5], v[0:1], v[2:3] op_sel:[0,1] op_sel_hi:[1,0]
	v_pk_add_f32 v[0:1], v[0:1], v[2:3] op_sel:[0,1] op_sel_hi:[1,0] neg_lo:[0,1] neg_hi:[0,1]
	v_mov_b32_e32 v2, v4
	v_mov_b32_e32 v3, v1
	;; [unrolled: 1-line block ×3, first 2 shown]
	ds_write2_b64 v55, v[38:39], v[2:3] offset1:4
	ds_write_b64 v55, v[0:1] offset:64
	v_pk_add_f32 v[0:1], v[50:51], v[60:61]
	v_pk_add_f32 v[2:3], v[50:51], v[60:61] neg_lo:[0,1] neg_hi:[0,1]
	v_pk_fma_f32 v[0:1], v[0:1], 0.5, v[8:9] op_sel_hi:[1,0,1] neg_lo:[1,0,0] neg_hi:[1,0,0]
	v_pk_mul_f32 v[2:3], v[2:3], s[2:3] op_sel_hi:[1,0]
	s_nop 0
	v_pk_add_f32 v[4:5], v[0:1], v[2:3] op_sel:[0,1] op_sel_hi:[1,0]
	v_pk_add_f32 v[0:1], v[0:1], v[2:3] op_sel:[0,1] op_sel_hi:[1,0] neg_lo:[0,1] neg_hi:[0,1]
	v_mov_b32_e32 v2, v4
	v_mov_b32_e32 v3, v1
	;; [unrolled: 1-line block ×3, first 2 shown]
	ds_write_b64 v41, v[0:1] offset:64
	v_mul_lo_u16_sdwa v0, v126, s4 dst_sel:DWORD dst_unused:UNUSED_PAD src0_sel:BYTE_0 src1_sel:DWORD
	v_lshrrev_b16_e32 v66, 11, v0
	v_mul_lo_u16_sdwa v4, v62, s4 dst_sel:DWORD dst_unused:UNUSED_PAD src0_sel:BYTE_0 src1_sel:DWORD
	v_mul_lo_u16_e32 v0, 12, v66
	v_lshrrev_b16_e32 v124, 11, v4
	v_sub_u16_e32 v0, v126, v0
	v_mul_lo_u16_e32 v4, 12, v124
	v_and_b32_e32 v77, 0xff, v0
	v_sub_u16_e32 v4, v62, v4
	v_mad_u64_u32 v[8:9], s[2:3], v77, 48, s[0:1]
	v_and_b32_e32 v125, 0xff, v4
	ds_write2_b64 v41, v[30:31], v[2:3] offset1:4
	s_waitcnt lgkmcnt(0)
	; wave barrier
	s_waitcnt lgkmcnt(0)
	global_load_dwordx4 v[46:49], v[8:9], off offset:96
	global_load_dwordx4 v[0:3], v[8:9], off offset:80
	v_mad_u64_u32 v[10:11], s[2:3], v125, 48, s[0:1]
	global_load_dwordx4 v[4:7], v[8:9], off offset:112
	global_load_dwordx4 v[42:45], v[10:11], off offset:80
	;; [unrolled: 1-line block ×3, first 2 shown]
	v_mul_lo_u16_sdwa v8, v54, s4 dst_sel:DWORD dst_unused:UNUSED_PAD src0_sel:BYTE_0 src1_sel:DWORD
	v_lshrrev_b16_e32 v75, 11, v8
	v_mul_lo_u16_e32 v8, 12, v75
	v_sub_u16_e32 v8, v54, v8
	v_and_b32_e32 v76, 0xff, v8
	v_mad_u64_u32 v[8:9], s[2:3], v76, 48, s[0:1]
	global_load_dwordx4 v[34:37], v[8:9], off offset:80
	global_load_dwordx4 v[38:41], v[8:9], off offset:96
	;; [unrolled: 1-line block ×4, first 2 shown]
	ds_read2_b64 v[24:27], v74 offset0:8 offset1:52
	ds_read2_b64 v[16:19], v74 offset0:96 offset1:140
	;; [unrolled: 1-line block ×8, first 2 shown]
	ds_read_b64 v[90:91], v122 offset:7040
	s_waitcnt lgkmcnt(4)
	v_mov_b32_e32 v92, v79
	s_waitcnt lgkmcnt(3)
	v_mov_b32_e32 v93, v83
	v_mov_b32_e32 v70, v78
	;; [unrolled: 1-line block ×3, first 2 shown]
	s_mov_b32 s2, 0x3f3bfb3b
	s_mov_b32 s3, 0x3d64c772
	;; [unrolled: 1-line block ×11, first 2 shown]
	s_waitcnt vmcnt(8)
	v_mul_f32_e32 v69, v58, v49
	v_mul_f32_e32 v67, v59, v48
	s_waitcnt vmcnt(7)
	v_mul_f32_e32 v28, v25, v3
	s_waitcnt vmcnt(5)
	v_mov_b32_e32 v72, v42
	s_waitcnt vmcnt(4)
	v_mov_b32_e32 v94, v50
	v_mov_b32_e32 v73, v50
	;; [unrolled: 1-line block ×3, first 2 shown]
	v_pk_mul_f32 v[92:93], v[92:93], v[50:51]
	v_mov_b32_e32 v97, v42
	v_pk_fma_f32 v[70:71], v[70:71], v[72:73], v[92:93] neg_lo:[0,0,1] neg_hi:[0,0,1]
	v_mov_b32_e32 v92, v60
	v_mov_b32_e32 v93, v78
	;; [unrolled: 1-line block ×6, first 2 shown]
	v_pk_mul_f32 v[78:79], v[92:93], v[42:43]
	v_mov_b32_e32 v93, v52
	v_pk_fma_f32 v[72:73], v[72:73], v[96:97], v[78:79]
	v_mov_b32_e32 v79, v60
	s_waitcnt lgkmcnt(2)
	v_mov_b32_e32 v60, v11
	s_waitcnt vmcnt(0)
	v_mov_b32_e32 v52, v57
	v_mov_b32_e32 v78, v10
	;; [unrolled: 1-line block ×3, first 2 shown]
	v_pk_mul_f32 v[60:61], v[60:61], v[52:53]
	v_mov_b32_e32 v68, v45
	v_pk_fma_f32 v[60:61], v[78:79], v[92:93], v[60:61] neg_lo:[0,0,1] neg_hi:[0,0,1]
	v_mov_b32_e32 v78, v83
	v_mov_b32_e32 v79, v11
	;; [unrolled: 1-line block ×6, first 2 shown]
	v_pk_mul_f32 v[10:11], v[82:83], v[10:11]
	v_mov_b32_e32 v92, v61
	v_pk_fma_f32 v[10:11], v[78:79], v[94:95], v[10:11]
	v_pk_add_f32 v[78:79], v[70:71], v[60:61]
	v_mov_b32_e32 v93, v70
	v_mov_b32_e32 v70, v71
	;; [unrolled: 1-line block ×3, first 2 shown]
	v_pk_mul_f32 v[60:61], v[26:27], v[68:69] op_sel_hi:[1,0]
	v_pk_add_f32 v[92:93], v[92:93], v[70:71] neg_lo:[0,1] neg_hi:[0,1]
	v_pk_fma_f32 v[70:71], v[26:27], v[44:45], v[60:61] op_sel:[0,0,1] op_sel_hi:[1,1,0] neg_lo:[0,0,1] neg_hi:[0,0,1]
	v_pk_fma_f32 v[26:27], v[26:27], v[44:45], v[60:61] op_sel:[0,0,1] op_sel_hi:[1,0,0]
	v_accvgpr_write_b32 a92, v94
	v_mov_b32_e32 v71, v27
	s_waitcnt lgkmcnt(1)
	v_pk_mul_f32 v[26:27], v[86:87], v[54:55] op_sel:[0,1]
	v_pk_add_f32 v[82:83], v[72:73], v[10:11]
	v_pk_fma_f32 v[60:61], v[86:87], v[54:55], v[26:27] op_sel:[0,0,1] op_sel_hi:[1,1,0] neg_lo:[0,0,1] neg_hi:[0,0,1]
	v_pk_fma_f32 v[26:27], v[86:87], v[54:55], v[26:27] op_sel:[0,0,1] op_sel_hi:[1,0,0]
	v_accvgpr_write_b32 a93, v95
	v_mov_b32_e32 v61, v27
	v_pk_add_f32 v[26:27], v[70:71], v[60:61]
	v_pk_add_f32 v[86:87], v[70:71], v[60:61] neg_lo:[0,1] neg_hi:[0,1]
	v_pk_add_f32 v[10:11], v[72:73], v[10:11] neg_lo:[0,1] neg_hi:[0,1]
	v_mov_b32_e32 v94, v86
	v_mov_b32_e32 v95, v27
	v_pk_add_f32 v[60:61], v[26:27], v[78:79]
	v_mov_b32_e32 v70, v92
	v_mov_b32_e32 v71, v82
	;; [unrolled: 1-line block ×6, first 2 shown]
	v_pk_add_f32 v[72:73], v[26:27], v[82:83]
	v_pk_add_f32 v[98:99], v[70:71], v[94:95] neg_lo:[0,1] neg_hi:[0,1]
	v_pk_add_f32 v[102:103], v[100:101], v[70:71] neg_lo:[0,1] neg_hi:[0,1]
	v_mov_b32_e32 v70, v87
	v_mov_b32_e32 v71, v10
	v_mov_b32_e32 v27, v60
	v_pk_add_f32 v[104:105], v[10:11], v[70:71] neg_lo:[0,1] neg_hi:[0,1]
	v_pk_add_f32 v[60:61], v[78:79], v[34:35] neg_lo:[0,1] neg_hi:[0,1]
	v_pk_add_f32 v[70:71], v[78:79], v[26:27]
	v_mov_b32_e32 v34, v73
	v_add_f32_e32 v27, v92, v86
	v_mov_b32_e32 v174, v40
	v_accvgpr_write_b32 a94, v96
	v_mov_b32_e32 v40, v87
	v_pk_add_f32 v[72:73], v[82:83], v[34:35]
	v_add_f32_e32 v34, v27, v93
	v_mov_b32_e32 v27, v79
	v_mov_b32_e32 v79, v26
	v_accvgpr_write_b32 a95, v97
	v_pk_add_f32 v[96:97], v[10:11], v[40:41]
	v_pk_add_f32 v[26:27], v[26:27], v[78:79] neg_lo:[0,1] neg_hi:[0,1]
	v_pk_add_f32 v[92:93], v[96:97], v[10:11] op_sel:[0,1]
	v_pk_mul_f32 v[106:107], v[26:27], s[2:3]
	v_pk_add_f32 v[10:11], v[86:87], v[10:11] neg_lo:[0,1] neg_hi:[0,1]
	v_pk_mul_f32 v[82:83], v[104:105], s[20:21]
	v_mov_b32_e32 v93, v11
	v_mov_b32_e32 v42, v107
	v_pk_mul_f32 v[78:79], v[102:103], s[18:19]
	v_pk_mul_f32 v[86:87], v[92:93], s[4:5]
	v_pk_fma_f32 v[102:103], v[26:27], s[2:3], v[42:43] neg_lo:[0,0,1] neg_hi:[0,0,1]
	v_mov_b32_e32 v26, v83
	v_pk_fma_f32 v[26:27], v[104:105], s[20:21], v[26:27]
	v_pk_fma_f32 v[82:83], v[104:105], s[20:21], v[86:87] neg_lo:[1,0,1] neg_hi:[1,0,1]
	v_mov_b32_e32 v10, v87
	v_mov_b32_e32 v27, v83
	v_pk_add_f32 v[82:83], v[94:95], v[100:101] neg_lo:[0,1] neg_hi:[0,1]
	v_pk_fma_f32 v[10:11], v[104:105], s[20:21], v[10:11] neg_lo:[1,0,0] neg_hi:[1,0,0]
	v_pk_mul_f32 v[82:83], v[82:83], s[24:25]
	v_pk_fma_f32 v[108:109], v[98:99], s[22:23], v[78:79]
	v_pk_fma_f32 v[94:95], v[98:99], s[22:23], v[82:83] neg_lo:[1,0,0] neg_hi:[1,0,0]
	v_pk_fma_f32 v[10:11], v[92:93], s[4:5], v[10:11]
	v_mov_b32_e32 v92, v82
	v_mov_b32_e32 v93, v79
	;; [unrolled: 1-line block ×4, first 2 shown]
	v_pk_add_f32 v[98:99], v[92:93], v[78:79] neg_lo:[1,1] neg_hi:[1,1]
	v_mov_b32_e32 v78, v85
	v_mov_b32_e32 v85, v16
	v_mov_b32_e32 v82, v39
	v_accvgpr_write_b32 a99, v83
	v_mov_b32_e32 v96, v13
	v_mov_b32_e32 v116, v35
	;; [unrolled: 1-line block ×4, first 2 shown]
	v_pk_add_f32 v[26:27], v[86:87], v[26:27] op_sel_hi:[0,1]
	v_accvgpr_write_b32 a98, v82
	v_pk_mul_f32 v[86:87], v[84:85], v[82:83]
	v_mov_b32_e32 v82, v96
	v_mov_b32_e32 v83, v88
	;; [unrolled: 1-line block ×10, first 2 shown]
	v_pk_mul_f32 v[82:83], v[82:83], v[100:101]
	v_accvgpr_write_b32 a80, v110
	v_pk_mul_f32 v[104:105], v[104:105], v[116:117]
	v_mov_b32_e32 v80, v17
	v_mov_b32_e32 v16, v37
	;; [unrolled: 1-line block ×6, first 2 shown]
	v_accvgpr_write_b32 a81, v111
	v_pk_fma_f32 v[12:13], v[12:13], v[110:111], v[82:83]
	v_pk_fma_f32 v[110:111], v[80:81], v[16:17], v[104:105] op_sel:[0,0,1] op_sel_hi:[1,1,0]
	v_pk_fma_f32 v[16:17], v[80:81], v[16:17], v[104:105] op_sel:[0,0,1] op_sel_hi:[1,1,0] neg_lo:[1,0,0] neg_hi:[1,0,0]
	v_mov_b32_e32 v80, v89
	s_waitcnt lgkmcnt(0)
	v_mov_b32_e32 v81, v90
	v_mov_b32_e32 v104, v31
	;; [unrolled: 1-line block ×4, first 2 shown]
	v_pk_mul_f32 v[80:81], v[80:81], v[104:105]
	v_mov_b32_e32 v89, v91
	v_mov_b32_e32 v31, v113
	v_mul_f32_e32 v70, 0x3ee1c552, v34
	v_mov_b32_e32 v85, v90
	v_mov_b32_e32 v100, v38
	;; [unrolled: 1-line block ×6, first 2 shown]
	v_pk_fma_f32 v[90:91], v[88:89], v[112:113], v[80:81]
	v_pk_fma_f32 v[30:31], v[88:89], v[30:31], v[80:81] neg_lo:[0,0,1] neg_hi:[0,0,1]
	v_mov_b32_e32 v39, v36
	v_mov_b32_e32 v34, v41
	v_pk_mul_f32 v[82:83], v[82:83], v[32:33]
	v_accvgpr_write_b32 a96, v100
	v_mov_b32_e32 v17, v111
	v_mov_b32_e32 v31, v91
	v_pk_fma_f32 v[78:79], v[78:79], v[38:39], v[86:87]
	v_pk_mul_f32 v[40:41], v[96:97], v[34:35]
	v_accvgpr_write_b32 a97, v101
	v_pk_fma_f32 v[100:101], v[84:85], v[100:101], v[82:83] neg_lo:[0,0,1] neg_hi:[0,0,1]
	v_pk_fma_f32 v[40:41], v[92:93], v[174:175], v[40:41] neg_lo:[0,0,1] neg_hi:[0,0,1]
	v_pk_add_f32 v[80:81], v[16:17], v[30:31]
	v_mov_b32_e32 v86, v79
	v_mov_b32_e32 v87, v16
	;; [unrolled: 1-line block ×4, first 2 shown]
	v_pk_add_f32 v[16:17], v[86:87], v[16:17] neg_lo:[0,1] neg_hi:[0,1]
	v_pk_add_f32 v[30:31], v[100:101], v[40:41]
	v_pk_add_f32 v[86:87], v[78:79], v[12:13]
	ds_read2_b64 v[82:85], v122 offset0:88 offset1:132
	v_mov_b32_e32 v88, v31
	v_mov_b32_e32 v89, v87
	;; [unrolled: 1-line block ×4, first 2 shown]
	v_pk_add_f32 v[40:41], v[40:41], v[100:101] neg_lo:[0,1] neg_hi:[0,1]
	v_pk_add_f32 v[88:89], v[88:89], v[80:81]
	v_pk_add_f32 v[92:93], v[80:81], v[92:93] neg_lo:[0,1] neg_hi:[0,1]
	v_mov_b32_e32 v97, v81
	v_mov_b32_e32 v81, v30
	v_mov_b32_e32 v100, v17
	v_mov_b32_e32 v101, v40
	v_mov_b32_e32 v104, v30
	v_pk_add_f32 v[30:31], v[30:31], v[80:81] neg_lo:[0,1] neg_hi:[0,1]
	v_accvgpr_write_b32 a74, v112
	v_mov_b32_e32 v96, v87
	v_pk_add_f32 v[100:101], v[40:41], v[100:101] neg_lo:[0,1] neg_hi:[0,1]
	v_mov_b32_e32 v105, v86
	v_pk_mul_f32 v[80:81], v[30:31], s[26:27]
	v_accvgpr_write_b32 a75, v113
	v_pk_add_f32 v[96:97], v[86:87], v[96:97] neg_lo:[0,1] neg_hi:[0,1]
	v_sub_f32_e32 v13, v17, v41
	v_pk_add_f32 v[86:87], v[104:105], v[88:89]
	v_pk_mul_f32 v[112:113], v[100:101], s[20:21]
	v_mov_b32_e32 v50, v81
	v_accvgpr_write_b32 a86, v116
	s_waitcnt lgkmcnt(0)
	v_pk_add_f32 v[88:89], v[82:83], v[86:87]
	v_pk_mul_f32 v[82:83], v[92:93], s[28:29]
	v_pk_mul_f32 v[104:105], v[96:97], s[30:31]
	v_mul_f32_e32 v36, 0x3f5ff5aa, v13
	v_pk_fma_f32 v[30:31], v[30:31], s[26:27], v[50:51]
	v_mov_b32_e32 v13, v112
	v_accvgpr_write_b32 a87, v117
	v_pk_fma_f32 v[116:117], v[92:93], s[28:29], v[104:105] op_sel:[0,0,1] op_sel_hi:[1,1,0]
	v_pk_fma_f32 v[92:93], v[92:93], s[28:29], v[80:81] neg_lo:[0,0,1] neg_hi:[0,0,1]
	v_sub_f32_e64 v31, -v81, v82
	v_xor_b32_e32 v81, 0x80000000, v83
	v_pk_fma_f32 v[82:83], v[100:101], s[20:21], v[12:13]
	v_mov_b32_e32 v13, v111
	v_mov_b32_e32 v79, v91
	v_pk_add_f32 v[12:13], v[12:13], v[78:79] neg_lo:[0,1] neg_hi:[0,1]
	v_mov_b32_e32 v79, v40
	v_mov_b32_e32 v78, v12
	;; [unrolled: 1-line block ×3, first 2 shown]
	v_pk_add_f32 v[78:79], v[78:79], v[16:17]
	v_mov_b32_e32 v17, v12
	v_pk_fma_f32 v[80:81], v[96:97], s[30:31], v[80:81] neg_lo:[1,0,0] neg_hi:[1,0,0]
	v_pk_fma_f32 v[96:97], v[100:101], s[20:21], v[36:37] op_sel_hi:[1,1,0] neg_lo:[1,0,0] neg_hi:[1,0,1]
	v_pk_add_f32 v[90:91], v[12:13], v[16:17] neg_lo:[0,1] neg_hi:[0,1]
	v_sub_f32_e32 v36, v16, v13
	v_mov_b32_e32 v40, v13
	v_accvgpr_write_b32 a90, v45
	v_pk_add_f32 v[12:13], v[78:79], v[40:41]
	v_pk_mul_f32 v[40:41], v[90:91], s[20:21]
	v_mul_f32_e32 v45, 0x3f5ff5aa, v36
	s_mov_b32 s24, s17
	v_xor_b32_e32 v79, 0x80000000, v45
	v_mov_b32_e32 v78, v41
	v_pk_fma_f32 v[86:87], v[86:87], s[24:25], v[88:89] op_sel_hi:[1,0,1] neg_lo:[1,0,0] neg_hi:[1,0,0]
	v_mov_b32_e32 v93, v117
	v_pk_mul_f32 v[16:17], v[12:13], s[4:5] op_sel_hi:[1,0]
	v_fma_f32 v82, v36, s5, -v40
	v_pk_fma_f32 v[40:41], v[90:91], s[20:21], v[78:79] neg_lo:[1,0,0] neg_hi:[1,0,0]
	v_pk_fma_f32 v[78:79], v[90:91], s[20:21], v[78:79]
	v_pk_add_f32 v[100:101], v[92:93], v[86:87]
	v_pk_add_f32 v[80:81], v[80:81], v[86:87] op_sel:[0,1]
	v_mov_b32_e32 v79, v41
	v_pk_fma_f32 v[12:13], v[12:13], s[4:5], v[82:83] op_sel_hi:[1,0,1]
	v_pk_add_f32 v[40:41], v[16:17], v[96:97] op_sel:[1,0]
	v_pk_add_f32 v[30:31], v[30:31], v[86:87] op_sel_hi:[1,0]
	v_pk_add_f32 v[16:17], v[16:17], v[78:79] op_sel_hi:[0,1]
	v_mov_b32_e32 v78, v101
	v_mov_b32_e32 v79, v81
	;; [unrolled: 1-line block ×4, first 2 shown]
	v_pk_add_f32 v[96:97], v[78:79], v[82:83] neg_lo:[0,1] neg_hi:[0,1]
	v_mov_b32_e32 v78, v31
	v_mov_b32_e32 v79, v100
	;; [unrolled: 1-line block ×4, first 2 shown]
	v_pk_add_f32 v[118:119], v[16:17], v[30:31]
	v_pk_add_f32 v[90:91], v[78:79], v[82:83] neg_lo:[0,1] neg_hi:[0,1]
	v_pk_add_f32 v[120:121], v[40:41], v[80:81]
	v_mov_b32_e32 v31, v80
	ds_read2_b64 v[78:81], v122 offset1:44
	v_mov_b32_e32 v17, v40
	v_pk_add_f32 v[40:41], v[12:13], v[100:101]
	v_mul_u32_u24_e32 v12, 0x54, v66
	v_add_lshl_u32 v50, v12, v77, 3
	v_mul_u32_u24_e32 v12, 0x54, v124
	v_add_lshl_u32 v45, v12, v125, 3
	v_mov_b32_e32 v12, v71
	v_mov_b32_e32 v13, v72
	s_waitcnt lgkmcnt(0)
	v_pk_add_f32 v[12:13], v[80:81], v[12:13]
	v_mov_b32_e32 v61, v71
	v_pk_add_f32 v[92:93], v[30:31], v[16:17] neg_lo:[0,1] neg_hi:[0,1]
	v_mov_b32_e32 v16, v107
	v_mov_b32_e32 v17, v12
	s_mov_b32 s19, 0xbf4a47b2
	v_pk_fma_f32 v[30:31], v[60:61], s[16:17], v[42:43]
	v_pk_fma_f32 v[16:17], v[60:61], s[16:17], v[16:17] neg_lo:[1,0,0] neg_hi:[1,0,0]
	v_fma_f32 v73, v60, s19, -v106
	v_fmamk_f32 v71, v72, 0xbf955555, v13
	v_mov_b32_e32 v31, v17
	v_mov_b32_e32 v72, v17
	v_pk_add_f32 v[16:17], v[102:103], v[72:73]
	v_pk_add_f32 v[30:31], v[30:31], v[72:73]
	;; [unrolled: 1-line block ×5, first 2 shown]
	v_pk_mul_f32 v[98:99], v[84:85], v[0:1] op_sel_hi:[1,0]
	v_fma_f32 v64, v24, v2, -v28
	v_pk_fma_f32 v[100:101], v[84:85], v[0:1], v[98:99] op_sel:[0,1,1] op_sel_hi:[1,1,0]
	v_pk_fma_f32 v[84:85], v[84:85], v[0:1], v[98:99] op_sel:[0,1,1] op_sel_hi:[1,1,0] neg_lo:[1,0,0] neg_hi:[1,0,0]
	v_mov_b32_e32 v98, v25
	v_mov_b32_e32 v99, v58
	;; [unrolled: 1-line block ×7, first 2 shown]
	v_pk_mul_f32 v[24:25], v[24:25], v[58:59]
	v_mul_f32_e32 v65, v19, v46
	v_mul_f32_e32 v29, v18, v47
	;; [unrolled: 1-line block ×3, first 2 shown]
	v_pk_fma_f32 v[58:59], v[98:99], v[2:3], v[24:25]
	v_pk_fma_f32 v[24:25], v[98:99], v[102:103], v[24:25] neg_lo:[0,0,1] neg_hi:[0,0,1]
	v_mov_b32_e32 v98, v15
	v_mov_b32_e32 v99, v18
	;; [unrolled: 1-line block ×5, first 2 shown]
	v_fma_f32 v28, v14, v4, -v28
	v_mov_b32_e32 v102, v4
	v_mov_b32_e32 v103, v46
	v_pk_mul_f32 v[14:15], v[14:15], v[18:19]
	v_mov_b32_e32 v101, v85
	v_pk_fma_f32 v[18:19], v[98:99], v[4:5], v[14:15]
	v_pk_fma_f32 v[14:15], v[98:99], v[102:103], v[14:15] neg_lo:[0,0,1] neg_hi:[0,0,1]
	v_pk_mul_f32 v[98:99], v[8:9], v[6:7] op_sel_hi:[1,0]
	v_mov_b32_e32 v14, v7
	v_pk_fma_f32 v[102:103], v[8:9], v[14:15], v[98:99] op_sel:[0,0,1] op_sel_hi:[1,0,0]
	v_pk_fma_f32 v[8:9], v[8:9], v[14:15], v[98:99] op_sel:[0,0,1] op_sel_hi:[1,0,0] neg_lo:[1,0,0] neg_hi:[1,0,0]
	v_mov_b32_e32 v59, v25
	v_mov_b32_e32 v19, v15
	v_mov_b32_e32 v103, v9
	v_mov_b32_e32 v66, v85
	v_mov_b32_e32 v68, v9
	v_pk_add_f32 v[82:83], v[64:65], v[28:29]
	v_pk_add_f32 v[98:99], v[100:101], v[102:103]
	v_pk_add_f32 v[100:101], v[100:101], v[102:103] neg_lo:[0,1] neg_hi:[0,1]
	v_pk_add_f32 v[102:103], v[58:59], v[18:19]
	v_pk_add_f32 v[8:9], v[66:67], v[68:69]
	v_pk_add_f32 v[18:19], v[58:59], v[18:19] neg_lo:[0,1] neg_hi:[0,1]
	v_mov_b32_e32 v58, v9
	v_mov_b32_e32 v59, v64
	;; [unrolled: 1-line block ×8, first 2 shown]
	v_pk_add_f32 v[28:29], v[58:59], v[64:65] neg_lo:[0,1] neg_hi:[0,1]
	v_pk_add_f32 v[84:85], v[82:83], v[8:9]
	v_pk_add_f32 v[14:15], v[14:15], v[24:25]
	v_mov_b32_e32 v66, v28
	v_mov_b32_e32 v67, v101
	;; [unrolled: 1-line block ×6, first 2 shown]
	v_pk_add_f32 v[66:67], v[66:67], v[18:19] neg_lo:[0,1] neg_hi:[0,1]
	v_pk_add_f32 v[24:25], v[24:25], v[82:83] neg_lo:[0,1] neg_hi:[0,1]
	v_mov_b32_e32 v9, v85
	v_mov_b32_e32 v104, v14
	;; [unrolled: 1-line block ×3, first 2 shown]
	v_pk_add_f32 v[14:15], v[84:85], v[14:15]
	v_pk_add_f32 v[58:59], v[58:59], v[28:29] neg_lo:[0,1] neg_hi:[0,1]
	s_mov_b32 s19, s22
	v_pk_mul_f32 v[66:67], v[66:67], s[20:21]
	v_pk_add_f32 v[68:69], v[18:19], v[28:29]
	v_pk_add_f32 v[104:105], v[8:9], v[104:105] neg_lo:[0,1] neg_hi:[0,1]
	v_pk_add_f32 v[78:79], v[78:79], v[14:15]
	v_pk_mul_f32 v[24:25], v[24:25], s[26:27]
	s_mov_b32 s17, s3
	v_pk_mul_f32 v[64:65], v[58:59], s[18:19]
	v_pk_add_f32 v[68:69], v[68:69], v[100:101]
	v_pk_mul_f32 v[84:85], v[104:105], s[16:17]
	v_pk_fma_f32 v[14:15], v[14:15], s[24:25], v[78:79] op_sel_hi:[1,0,1] neg_lo:[1,0,0] neg_hi:[1,0,0]
	v_pk_fma_f32 v[104:105], v[104:105], s[16:17], v[24:25]
	v_pk_fma_f32 v[58:59], v[58:59], s[18:19], v[66:67]
	v_pk_add_f32 v[104:105], v[104:105], v[14:15]
	v_pk_fma_f32 v[58:59], v[68:69], s[4:5], v[58:59] op_sel_hi:[1,0,1]
	v_mov_b32_e32 v19, v29
	v_pk_add_f32 v[106:107], v[104:105], v[58:59]
	v_pk_add_f32 v[58:59], v[104:105], v[58:59] neg_lo:[0,1] neg_hi:[0,1]
	v_mov_b32_e32 v104, v106
	v_mov_b32_e32 v105, v59
	;; [unrolled: 1-line block ×4, first 2 shown]
	s_waitcnt lgkmcnt(0)
	; wave barrier
	ds_write2_b64 v50, v[78:79], v[104:105] offset1:12
	v_pk_add_f32 v[18:19], v[18:19], v[100:101] neg_lo:[0,1] neg_hi:[0,1]
	s_mov_b32 s16, s5
	v_pk_add_f32 v[8:9], v[82:83], v[8:9] neg_lo:[0,1] neg_hi:[0,1]
	v_mov_b32_e32 v28, v84
	v_mov_b32_e32 v29, v25
	;; [unrolled: 1-line block ×6, first 2 shown]
	v_pk_fma_f32 v[28:29], v[8:9], s[2:3], v[28:29] op_sel_hi:[1,0,1] neg_lo:[1,0,1] neg_hi:[1,0,1]
	v_pk_fma_f32 v[78:79], v[18:19], s[16:17], v[78:79] op_sel_hi:[1,0,1] neg_lo:[1,0,1] neg_hi:[1,0,1]
	v_pk_fma_f32 v[8:9], v[8:9], s[2:3], v[24:25] op_sel_hi:[1,0,1] neg_lo:[0,0,1] neg_hi:[0,0,1]
	v_pk_fma_f32 v[18:19], v[18:19], s[16:17], v[66:67] op_sel_hi:[1,0,1] neg_lo:[0,0,1] neg_hi:[0,0,1]
	v_pk_add_f32 v[28:29], v[28:29], v[14:15]
	v_pk_fma_f32 v[78:79], v[68:69], s[4:5], v[78:79] op_sel_hi:[1,0,1]
	v_pk_add_f32 v[8:9], v[8:9], v[14:15]
	v_pk_fma_f32 v[14:15], v[68:69], s[4:5], v[18:19] op_sel_hi:[1,0,1]
	v_pk_add_f32 v[82:83], v[28:29], v[78:79]
	v_pk_add_f32 v[28:29], v[28:29], v[78:79] neg_lo:[0,1] neg_hi:[0,1]
	v_pk_add_f32 v[18:19], v[8:9], v[14:15] neg_lo:[0,1] neg_hi:[0,1]
	v_pk_add_f32 v[8:9], v[8:9], v[14:15]
	v_mov_b32_e32 v79, v29
	v_mov_b32_e32 v15, v9
	;; [unrolled: 1-line block ×6, first 2 shown]
	ds_write2_b64 v50, v[8:9], v[28:29] offset0:48 offset1:60
	v_mov_b32_e32 v8, v30
	v_mov_b32_e32 v9, v60
	ds_write2_b64 v50, v[78:79], v[14:15] offset0:24 offset1:36
	v_pk_add_f32 v[14:15], v[26:27], v[30:31]
	v_pk_add_f32 v[8:9], v[60:61], v[8:9] neg_lo:[0,1] neg_hi:[0,1]
	v_mov_b32_e32 v59, v107
	v_mov_b32_e32 v15, v9
	ds_write_b64 v50, v[58:59] offset:576
	ds_write2_b64 v45, v[12:13], v[14:15] offset1:12
	v_mov_b32_e32 v8, v27
	v_mov_b32_e32 v12, v31
	;; [unrolled: 1-line block ×7, first 2 shown]
	v_pk_add_f32 v[8:9], v[8:9], v[12:13]
	v_pk_add_f32 v[12:13], v[70:71], v[12:13] neg_lo:[0,1] neg_hi:[0,1]
	v_pk_add_f32 v[10:11], v[16:17], v[10:11] neg_lo:[0,1] neg_hi:[0,1]
	v_pk_add_f32 v[78:79], v[14:15], v[18:19]
	v_mov_b32_e32 v36, v71
	v_mov_b32_e32 v9, v13
	;; [unrolled: 1-line block ×4, first 2 shown]
	v_pk_add_f32 v[80:81], v[70:71], v[36:37]
	v_pk_add_f32 v[94:95], v[30:31], v[26:27] neg_lo:[0,1] neg_hi:[0,1]
	v_mov_b32_e32 v36, v61
	ds_write2_b64 v45, v[8:9], v[10:11] offset0:24 offset1:36
	v_pk_add_f32 v[8:9], v[72:73], v[12:13] neg_lo:[0,1] neg_hi:[0,1]
	v_pk_add_f32 v[86:87], v[60:61], v[36:37]
	v_mov_b32_e32 v79, v9
	v_mov_b32_e32 v8, v95
	;; [unrolled: 1-line block ×3, first 2 shown]
	ds_write2_b64 v45, v[78:79], v[8:9] offset0:48 offset1:60
	v_mov_b32_e32 v8, v94
	v_mov_b32_e32 v9, v86
	ds_write_b64 v45, v[8:9] offset:576
	v_mul_u32_u24_e32 v8, 0x54, v75
	v_add_lshl_u32 v12, v8, v76, 3
	v_mov_b32_e32 v8, v118
	v_mov_b32_e32 v9, v96
	ds_write2_b64 v12, v[88:89], v[8:9] offset1:12
	v_mov_b32_e32 v8, v119
	v_mov_b32_e32 v9, v97
	;; [unrolled: 1-line block ×4, first 2 shown]
	ds_write2_b64 v12, v[8:9], v[10:11] offset0:24 offset1:36
	v_mov_b32_e32 v8, v40
	v_mov_b32_e32 v9, v93
	;; [unrolled: 1-line block ×4, first 2 shown]
	ds_write2_b64 v12, v[8:9], v[10:11] offset0:48 offset1:60
	v_mov_b32_e32 v8, v92
	v_mov_b32_e32 v9, v41
	ds_write_b64 v12, v[8:9] offset:576
	v_add_u32_e32 v8, 0xc00, v122
	s_waitcnt lgkmcnt(0)
	; wave barrier
	s_waitcnt lgkmcnt(0)
	ds_read2_b64 v[82:85], v122 offset1:84
	ds_read2_b64 v[110:113], v122 offset0:168 offset1:252
	ds_read2_b64 v[106:109], v74 offset0:80 offset1:164
	;; [unrolled: 1-line block ×4, first 2 shown]
	ds_read_b64 v[230:231], v122 offset:6720
	v_accvgpr_write_b32 a88, v50
	v_accvgpr_write_b32 a85, v45
	;; [unrolled: 1-line block ×3, first 2 shown]
	v_mov_b32_e32 v36, v37
	v_cmp_gt_u16_e64 s[2:3], 40, v126
	v_cmp_lt_u16_e64 s[4:5], 39, v126
	s_and_saveexec_b64 s[16:17], s[4:5]
	s_xor_b64 s[16:17], exec, s[16:17]
	s_andn2_saveexec_b64 s[16:17], s[16:17]
	s_cbranch_execz .LBB0_13
; %bb.12:
	v_add_u32_e32 v8, 0x400, v122
	ds_read2_b64 v[86:89], v8 offset0:84 offset1:168
	v_add_u32_e32 v8, 0x1000, v122
	v_add_u32_e32 v12, 0x1400, v122
	ds_read2_b64 v[78:81], v122 offset0:44 offset1:128
	ds_read2_b64 v[8:11], v8 offset0:36 offset1:120
	;; [unrolled: 1-line block ×3, first 2 shown]
	v_add_u32_e32 v12, 0x800, v122
	ds_read2_b64 v[94:97], v12 offset0:124 offset1:208
	ds_read_b64 v[114:115], v122 offset:7072
	s_waitcnt lgkmcnt(3)
	v_mov_b32_e32 v120, v9
	s_waitcnt lgkmcnt(2)
	v_mov_b32_e32 v121, v91
	v_mov_b32_e32 v40, v10
	v_mov_b32_e32 v41, v93
	s_waitcnt lgkmcnt(1)
	v_mov_b32_e32 v118, v94
	v_mov_b32_e32 v119, v96
	;; [unrolled: 1-line block ×9, first 2 shown]
.LBB0_13:
	s_or_b64 exec, exec, s[16:17]
	s_movk_i32 s16, 0x50
	v_mov_b64_e32 v[8:9], s[0:1]
	v_mad_u64_u32 v[66:67], s[16:17], v126, s16, v[8:9]
	v_subrev_u32_e32 v8, 40, v126
	v_cndmask_b32_e64 v8, v8, v62, s[2:3]
	global_load_dwordx4 v[58:61], v[66:67], off offset:656
	v_mul_hi_i32_i24_e32 v9, 0x50, v8
	v_mul_i32_i24_e32 v8, 0x50, v8
	v_lshl_add_u64 v[24:25], s[0:1], 0, v[8:9]
	global_load_dwordx4 v[8:11], v[24:25], off offset:656
	global_load_dwordx4 v[158:161], v[24:25], off offset:672
	;; [unrolled: 1-line block ×4, first 2 shown]
	v_accvgpr_write_b32 a6, v126
	global_load_dwordx4 v[24:27], v[24:25], off offset:688
	s_nop 0
	global_load_dwordx4 v[70:73], v[66:67], off offset:672
	global_load_dwordx4 v[62:65], v[66:67], off offset:704
	;; [unrolled: 1-line block ×3, first 2 shown]
	s_nop 0
	global_load_dwordx4 v[66:69], v[66:67], off offset:720
	v_mov_b32_e32 v126, v89
	v_mov_b32_e32 v134, v41
	s_waitcnt lgkmcnt(0)
	v_mov_b32_e32 v136, v115
	s_mov_b32 s0, 0xbf0a6770
	s_mov_b32 s16, 0xbf68dda4
	;; [unrolled: 1-line block ×8, first 2 shown]
	v_mov_b32_e32 v128, v93
	v_mov_b32_e32 v132, v121
	s_mov_b32 s18, s17
	s_mov_b32 s20, 0xbf7d64f0
	;; [unrolled: 1-line block ×20, first 2 shown]
	v_add_u32_e32 v45, 0xc00, v122
	s_waitcnt vmcnt(9)
	v_mov_b32_e32 v42, v59
	v_pk_mul_f32 v[116:117], v[84:85], v[58:59] op_sel:[1,0] op_sel_hi:[0,1]
	v_pk_mul_f32 v[124:125], v[84:85], v[42:43] op_sel:[1,0] op_sel_hi:[0,1]
	v_mov_b32_e32 v42, v117
	v_pk_fma_f32 v[244:245], v[84:85], v[58:59], v[124:125] neg_lo:[0,0,1] neg_hi:[0,0,1]
	v_pk_fma_f32 v[124:125], v[84:85], v[58:59], v[42:43] op_sel:[1,0,0] op_sel_hi:[0,1,1]
	s_waitcnt vmcnt(8)
	v_mul_f32_e32 v12, v95, v8
	v_mul_f32_e32 v42, v95, v9
	;; [unrolled: 1-line block ×4, first 2 shown]
	s_waitcnt vmcnt(7)
	v_pk_mul_f32 v[84:85], v[88:89], v[158:159]
	s_waitcnt vmcnt(6)
	v_pk_mul_f32 v[94:95], v[92:93], v[16:17]
	;; [unrolled: 2-line block ×3, first 2 shown]
	v_mov_b32_e32 v84, v159
	v_mov_b32_e32 v116, v161
	;; [unrolled: 1-line block ×4, first 2 shown]
	v_fma_f32 v52, -v80, v9, v12
	v_fmac_f32_e32 v42, v80, v8
	v_mov_b32_e32 v80, v85
	v_mov_b32_e32 v150, v95
	;; [unrolled: 1-line block ×3, first 2 shown]
	v_pk_mul_f32 v[142:143], v[40:41], v[28:29]
	v_fma_f32 v12, -v86, v11, v13
	v_fmac_f32_e32 v50, v86, v10
	v_pk_mul_f32 v[84:85], v[88:89], v[84:85]
	v_pk_mul_f32 v[86:87], v[96:97], v[116:117]
	;; [unrolled: 1-line block ×5, first 2 shown]
	v_pk_fma_f32 v[116:117], v[88:89], v[158:159], v[80:81] neg_lo:[0,0,1] neg_hi:[0,0,1]
	v_pk_fma_f32 v[88:89], v[40:41], v[16:17], v[150:151] neg_lo:[0,0,1] neg_hi:[0,0,1]
	;; [unrolled: 1-line block ×3, first 2 shown]
	v_pk_fma_f32 v[94:95], v[126:127], v[158:159], v[84:85]
	v_pk_fma_f32 v[190:191], v[118:119], v[160:161], v[86:87] neg_lo:[0,0,1] neg_hi:[0,0,1]
	v_pk_fma_f32 v[86:87], v[136:137], v[30:31], v[146:147]
	v_pk_add_f32 v[84:85], v[52:53], v[40:41]
	v_pk_add_f32 v[80:81], v[52:53], v[40:41] neg_lo:[0,1] neg_hi:[0,1]
	v_pk_mul_f32 v[140:141], v[120:121], v[18:19]
	v_mov_b32_e32 v142, v29
	v_accvgpr_write_b32 a104, v40
	v_pk_add_f32 v[40:41], v[42:43], v[86:87] neg_lo:[0,1] neg_hi:[0,1]
	v_accvgpr_write_b32 a116, v86
	v_pk_add_f32 v[86:87], v[42:43], v[86:87]
	v_mov_b32_e32 v85, v80
	v_mov_b32_e32 v140, v19
	;; [unrolled: 1-line block ×3, first 2 shown]
	v_pk_mul_f32 v[142:143], v[92:93], v[142:143]
	v_mov_b32_e32 v41, v86
	v_pk_mul_f32 v[80:81], v[84:85], s[34:35]
	v_pk_mul_f32 v[86:87], v[84:85], s[38:39]
	v_mov_b32_e32 v152, v141
	v_pk_mul_f32 v[140:141], v[90:91], v[140:141]
	v_pk_fma_f32 v[14:15], v[92:93], v[28:29], v[154:155] neg_lo:[0,0,1] neg_hi:[0,0,1]
	v_pk_fma_f32 v[92:93], v[134:135], v[28:29], v[142:143]
	v_accvgpr_write_b32 a119, v81
	v_accvgpr_write_b32 a121, v87
	v_pk_fma_f32 v[130:131], v[128:129], v[16:17], v[138:139]
	v_pk_fma_f32 v[138:139], v[132:133], v[18:19], v[140:141]
	;; [unrolled: 1-line block ×3, first 2 shown]
	v_accvgpr_write_b32 a118, v80
	v_pk_fma_f32 v[126:127], v[40:41], s[0:1], v[80:81] neg_lo:[0,0,1] neg_hi:[0,0,1]
	v_pk_fma_f32 v[134:135], v[40:41], s[16:17], v[86:87]
	v_accvgpr_write_b32 a120, v86
	v_pk_fma_f32 v[128:129], v[40:41], s[16:17], v[86:87] neg_lo:[0,0,1] neg_hi:[0,0,1]
	v_pk_add_f32 v[86:87], v[12:13], v[14:15]
	v_accvgpr_write_b32 a102, v14
	v_pk_add_f32 v[14:15], v[12:13], v[14:15] neg_lo:[0,1] neg_hi:[0,1]
	v_pk_add_f32 v[80:81], v[50:51], v[92:93] neg_lo:[0,1] neg_hi:[0,1]
	s_waitcnt vmcnt(4)
	v_pk_mul_f32 v[132:133], v[96:97], v[24:25] op_sel:[1,0]
	v_pk_fma_f32 v[144:145], v[96:97], v[160:161], v[148:149]
	v_accvgpr_write_b32 a100, v12
	v_accvgpr_write_b32 a114, v92
	v_pk_add_f32 v[92:93], v[50:51], v[92:93]
	v_pk_fma_f32 v[96:97], v[118:119], v[24:25], v[132:133] op_sel:[1,0,1] op_sel_hi:[1,1,0] neg_lo:[0,0,1] neg_hi:[0,0,1]
	v_pk_fma_f32 v[12:13], v[118:119], v[24:25], v[132:133] op_sel:[1,0,1] op_sel_hi:[1,1,0]
	v_pk_mul_f32 v[118:119], v[120:121], v[26:27] op_sel_hi:[0,1]
	v_mov_b32_e32 v126, v114
	v_mov_b32_e32 v81, v14
	v_accvgpr_write_b32 a103, v13
	v_mov_b32_e32 v97, v13
	v_pk_fma_f32 v[210:211], v[90:91], v[26:27], v[118:119] op_sel:[1,0,1] op_sel_hi:[1,1,0] neg_lo:[0,0,1] neg_hi:[0,0,1]
	v_pk_fma_f32 v[12:13], v[90:91], v[26:27], v[118:119] op_sel:[1,0,1] op_sel_hi:[1,1,0]
	v_pk_add_f32 v[118:119], v[78:79], v[126:127]
	v_mov_b32_e32 v87, v92
	v_pk_mul_f32 v[126:127], v[80:81], s[16:17] op_sel_hi:[1,0]
	v_accvgpr_write_b32 a109, v13
	v_mov_b32_e32 v211, v13
	v_pk_fma_f32 v[12:13], v[86:87], s[18:19], v[126:127] op_sel_hi:[1,0,1]
	v_pk_fma_f32 v[218:219], v[86:87], s[18:19], v[126:127] op_sel_hi:[1,0,1] neg_lo:[0,0,1] neg_hi:[0,0,1]
	s_mov_b32 s18, 0xbf4178ce
	v_mov_b32_e32 v126, v12
	v_mov_b32_e32 v127, v219
	s_mov_b32 s19, 0xbf27a4f4
	v_pk_add_f32 v[118:119], v[126:127], v[118:119]
	s_mov_b32 s44, s19
	v_pk_mul_f32 v[126:127], v[80:81], s[18:19] op_sel_hi:[1,0]
	v_mov_b32_e32 v128, v134
	v_accvgpr_write_b32 a105, v13
	v_pk_fma_f32 v[12:13], v[86:87], s[44:45], v[126:127] op_sel_hi:[1,0,1]
	v_pk_fma_f32 v[222:223], v[86:87], s[44:45], v[126:127] op_sel_hi:[1,0,1] neg_lo:[0,0,1] neg_hi:[0,0,1]
	v_pk_fma_f32 v[192:193], v[90:91], v[18:19], v[152:153] neg_lo:[0,0,1] neg_hi:[0,0,1]
	v_pk_add_f32 v[120:121], v[78:79], v[128:129]
	v_mov_b32_e32 v126, v12
	v_mov_b32_e32 v127, v223
	;; [unrolled: 1-line block ×3, first 2 shown]
	v_pk_add_f32 v[120:121], v[126:127], v[120:121]
	v_pk_mul_f32 v[126:127], v[110:111], v[90:91] op_sel_hi:[1,0]
	s_waitcnt vmcnt(3)
	v_mov_b32_e32 v90, v73
	v_pk_fma_f32 v[128:129], v[110:111], v[60:61], v[126:127] op_sel:[0,0,1] op_sel_hi:[1,1,0] neg_lo:[0,0,1] neg_hi:[0,0,1]
	v_pk_fma_f32 v[110:111], v[110:111], v[60:61], v[126:127] op_sel:[0,0,1] op_sel_hi:[1,0,0]
	v_accvgpr_write_b32 a101, v135
	v_mov_b32_e32 v129, v111
	v_pk_mul_f32 v[110:111], v[112:113], v[70:71] op_sel:[0,1]
	v_mov_b32_e32 v134, v244
	v_pk_fma_f32 v[126:127], v[112:113], v[70:71], v[110:111] op_sel:[0,0,1] op_sel_hi:[1,1,0] neg_lo:[0,0,1] neg_hi:[0,0,1]
	v_pk_fma_f32 v[110:111], v[112:113], v[70:71], v[110:111] op_sel:[0,0,1] op_sel_hi:[1,0,0]
	v_mov_b32_e32 v135, v124
	v_mov_b32_e32 v127, v111
	v_pk_mul_f32 v[110:111], v[106:107], v[90:91] op_sel_hi:[1,0]
	s_waitcnt vmcnt(1)
	v_mov_b32_e32 v90, v77
	v_pk_fma_f32 v[112:113], v[106:107], v[72:73], v[110:111] op_sel:[0,0,1] op_sel_hi:[1,1,0] neg_lo:[0,0,1] neg_hi:[0,0,1]
	v_pk_fma_f32 v[106:107], v[106:107], v[72:73], v[110:111] op_sel:[0,0,1] op_sel_hi:[1,0,0]
	v_pk_add_f32 v[134:135], v[82:83], v[134:135]
	v_mov_b32_e32 v113, v107
	v_pk_mul_f32 v[106:107], v[108:109], v[74:75] op_sel:[0,1]
	v_pk_add_f32 v[134:135], v[134:135], v[128:129]
	v_pk_fma_f32 v[110:111], v[108:109], v[74:75], v[106:107] op_sel:[0,0,1] op_sel_hi:[1,1,0] neg_lo:[0,0,1] neg_hi:[0,0,1]
	v_pk_fma_f32 v[106:107], v[108:109], v[74:75], v[106:107] op_sel:[0,0,1] op_sel_hi:[1,0,0]
	v_pk_add_f32 v[134:135], v[134:135], v[126:127]
	v_mov_b32_e32 v111, v107
	v_pk_mul_f32 v[106:107], v[102:103], v[90:91] op_sel_hi:[1,0]
	v_mov_b32_e32 v90, v65
	v_pk_fma_f32 v[108:109], v[102:103], v[76:77], v[106:107] op_sel:[0,0,1] op_sel_hi:[1,1,0] neg_lo:[0,0,1] neg_hi:[0,0,1]
	v_pk_fma_f32 v[102:103], v[102:103], v[76:77], v[106:107] op_sel:[0,0,1] op_sel_hi:[1,0,0]
	v_pk_add_f32 v[134:135], v[134:135], v[112:113]
	v_mov_b32_e32 v109, v103
	v_pk_mul_f32 v[102:103], v[104:105], v[62:63] op_sel:[0,1]
	v_pk_add_f32 v[134:135], v[134:135], v[110:111]
	v_pk_fma_f32 v[106:107], v[104:105], v[62:63], v[102:103] op_sel:[0,0,1] op_sel_hi:[1,1,0] neg_lo:[0,0,1] neg_hi:[0,0,1]
	v_pk_fma_f32 v[102:103], v[104:105], v[62:63], v[102:103] op_sel:[0,0,1] op_sel_hi:[1,0,0]
	v_pk_add_f32 v[134:135], v[134:135], v[108:109]
	v_mov_b32_e32 v107, v103
	v_pk_mul_f32 v[102:103], v[98:99], v[90:91] op_sel_hi:[1,0]
	s_waitcnt vmcnt(0)
	v_mov_b32_e32 v90, v69
	v_pk_fma_f32 v[104:105], v[98:99], v[64:65], v[102:103] op_sel:[0,0,1] op_sel_hi:[1,1,0] neg_lo:[0,0,1] neg_hi:[0,0,1]
	v_pk_fma_f32 v[98:99], v[98:99], v[64:65], v[102:103] op_sel:[0,0,1] op_sel_hi:[1,0,0]
	v_pk_add_f32 v[134:135], v[134:135], v[106:107]
	v_mov_b32_e32 v105, v99
	v_pk_mul_f32 v[98:99], v[100:101], v[66:67] op_sel:[0,1]
	v_pk_add_f32 v[134:135], v[134:135], v[104:105]
	v_pk_fma_f32 v[102:103], v[100:101], v[66:67], v[98:99] op_sel:[0,0,1] op_sel_hi:[1,1,0] neg_lo:[0,0,1] neg_hi:[0,0,1]
	v_pk_fma_f32 v[98:99], v[100:101], v[66:67], v[98:99] op_sel:[0,0,1] op_sel_hi:[1,0,0]
	v_mov_b32_e32 v37, v124
	v_mov_b32_e32 v103, v99
	v_pk_mul_f32 v[98:99], v[230:231], v[90:91] op_sel_hi:[1,0]
	v_pk_add_f32 v[134:135], v[134:135], v[102:103]
	v_pk_fma_f32 v[100:101], v[230:231], v[68:69], v[98:99] op_sel:[0,0,1] op_sel_hi:[1,0,0] neg_lo:[0,0,1] neg_hi:[0,0,1]
	v_pk_fma_f32 v[132:133], v[230:231], v[68:69], v[98:99] op_sel:[0,0,1] op_sel_hi:[1,0,0]
	v_mov_b32_e32 v98, v100
	v_mov_b32_e32 v99, v133
	v_pk_add_f32 v[136:137], v[244:245], v[100:101]
	v_pk_add_f32 v[100:101], v[244:245], v[100:101] neg_lo:[0,1] neg_hi:[0,1]
	v_mov_b32_e32 v90, v133
	v_accvgpr_write_b32 a112, v138
	v_mov_b32_e32 v193, v138
	v_pk_add_f32 v[134:135], v[134:135], v[98:99]
	v_pk_add_f32 v[98:99], v[36:37], v[132:133]
	v_pk_add_f32 v[138:139], v[124:125], v[90:91] neg_lo:[0,1] neg_hi:[0,1]
	v_mov_b32_e32 v137, v100
	v_pk_add_f32 v[140:141], v[128:129], v[102:103]
	v_pk_add_f32 v[124:125], v[128:129], v[102:103] neg_lo:[0,1] neg_hi:[0,1]
	v_mov_b32_e32 v98, v138
	v_pk_mul_f32 v[102:103], v[136:137], s[34:35]
	v_pk_add_f32 v[142:143], v[126:127], v[104:105]
	v_pk_add_f32 v[126:127], v[126:127], v[104:105] neg_lo:[0,1] neg_hi:[0,1]
	v_pk_fma_f32 v[104:105], v[138:139], s[0:1], v[102:103] neg_lo:[1,0,0] neg_hi:[1,0,0]
	v_pk_fma_f32 v[100:101], v[98:99], s[0:1], v[102:103]
	v_pk_add_f32 v[148:149], v[110:111], v[108:109]
	v_mov_b32_e32 v105, v101
	v_pk_add_f32 v[132:133], v[110:111], v[108:109] neg_lo:[0,1] neg_hi:[0,1]
	v_pk_add_f32 v[110:111], v[82:83], v[104:105]
	v_mov_b32_e32 v105, v141
	v_mov_b32_e32 v141, v124
	;; [unrolled: 1-line block ×3, first 2 shown]
	v_pk_mul_f32 v[108:109], v[140:141], s[38:39]
	v_pk_add_f32 v[146:147], v[112:113], v[106:107]
	v_pk_add_f32 v[128:129], v[112:113], v[106:107] neg_lo:[0,1] neg_hi:[0,1]
	v_pk_fma_f32 v[112:113], v[104:105], s[16:17], v[108:109] neg_lo:[1,0,0] neg_hi:[1,0,0]
	v_pk_fma_f32 v[106:107], v[104:105], s[16:17], v[108:109]
	v_mov_b32_e32 v245, v147
	v_mov_b32_e32 v113, v107
	v_pk_add_f32 v[124:125], v[112:113], v[110:111]
	v_mov_b32_e32 v111, v143
	v_mov_b32_e32 v143, v126
	;; [unrolled: 1-line block ×3, first 2 shown]
	v_pk_mul_f32 v[230:231], v[142:143], s[40:41]
	v_mov_b32_e32 v147, v128
	v_pk_fma_f32 v[126:127], v[110:111], s[20:21], v[230:231] neg_lo:[1,0,0] neg_hi:[1,0,0]
	v_pk_fma_f32 v[112:113], v[110:111], s[20:21], v[230:231]
	s_mov_b32 s36, s19
	s_mov_b32 s37, s18
	v_mov_b32_e32 v127, v113
	v_mov_b32_e32 v244, v129
	v_pk_mul_f32 v[250:251], v[146:147], s[36:37]
	v_pk_add_f32 v[124:125], v[126:127], v[124:125]
	v_pk_fma_f32 v[126:127], v[244:245], s[18:19], v[250:251] neg_lo:[1,0,0] neg_hi:[1,0,0]
	v_pk_fma_f32 v[248:249], v[244:245], s[18:19], v[250:251]
	v_mov_b32_e32 v253, v149
	v_mov_b32_e32 v127, v249
	;; [unrolled: 1-line block ×3, first 2 shown]
	v_pk_add_f32 v[126:127], v[126:127], v[124:125]
	v_mov_b32_e32 v252, v133
	v_pk_mul_f32 v[124:125], v[148:149], s[30:31]
	v_mov_b32_e32 v117, v94
	v_pk_fma_f32 v[128:129], v[252:253], s[24:25], v[124:125] neg_lo:[1,0,0] neg_hi:[1,0,0]
	v_pk_fma_f32 v[254:255], v[252:253], s[24:25], v[124:125]
	v_accvgpr_write_b32 a52, v158
	v_mov_b32_e32 v129, v255
	v_pk_add_f32 v[126:127], v[128:129], v[126:127]
	v_pk_mul_f32 v[128:129], v[136:137], s[38:39]
	ds_write2_b64 v122, v[134:135], v[126:127] offset1:84
	v_pk_fma_f32 v[132:133], v[138:139], s[16:17], v[128:129] neg_lo:[1,0,0] neg_hi:[1,0,0]
	v_pk_fma_f32 v[126:127], v[98:99], s[16:17], v[128:129]
	v_pk_mul_f32 v[134:135], v[140:141], s[36:37]
	v_mov_b32_e32 v133, v127
	v_pk_add_f32 v[232:233], v[116:117], v[192:193] neg_lo:[0,1] neg_hi:[0,1]
	v_pk_add_f32 v[150:151], v[82:83], v[132:133]
	v_pk_fma_f32 v[152:153], v[104:105], s[18:19], v[134:135] neg_lo:[1,0,0] neg_hi:[1,0,0]
	v_pk_fma_f32 v[132:133], v[104:105], s[18:19], v[134:135]
	v_accvgpr_write_b32 a53, v159
	v_accvgpr_write_b32 a54, v160
	;; [unrolled: 1-line block ×3, first 2 shown]
	v_pk_mul_f32 v[238:239], v[232:233], s[22:23] op_sel:[1,0] op_sel_hi:[0,0]
	v_mov_b32_e32 v191, v144
	v_mov_b32_e32 v89, v130
	;; [unrolled: 1-line block ×3, first 2 shown]
	s_mov_b32 s23, s25
	v_pk_mul_f32 v[160:161], v[142:143], s[48:49]
	v_pk_add_f32 v[234:235], v[190:191], v[88:89] neg_lo:[0,1] neg_hi:[0,1]
	v_pk_add_f32 v[150:151], v[152:153], v[150:151]
	v_pk_fma_f32 v[152:153], v[110:111], s[22:23], v[160:161] neg_lo:[1,0,0] neg_hi:[1,0,0]
	v_pk_fma_f32 v[162:163], v[110:111], s[22:23], v[160:161]
	v_pk_mul_f32 v[240:241], v[234:235], s[26:27] op_sel:[1,0] op_sel_hi:[0,0]
	v_mov_b32_e32 v153, v163
	s_mov_b32 s27, s21
	v_pk_mul_f32 v[164:165], v[146:147], s[46:47]
	v_pk_add_f32 v[236:237], v[96:97], v[210:211] neg_lo:[0,1] neg_hi:[0,1]
	v_pk_add_f32 v[150:151], v[152:153], v[150:151]
	v_pk_fma_f32 v[152:153], v[244:245], s[26:27], v[164:165] neg_lo:[1,0,0] neg_hi:[1,0,0]
	v_pk_fma_f32 v[166:167], v[244:245], s[26:27], v[164:165]
	s_mov_b32 s38, s1
	s_mov_b32 s39, s28
	v_pk_mul_f32 v[242:243], v[236:237], s[28:29] op_sel:[1,0] op_sel_hi:[0,0]
	v_mov_b32_e32 v153, v167
	s_mov_b32 s29, s1
	v_pk_mul_f32 v[168:169], v[148:149], s[38:39]
	v_pk_add_f32 v[150:151], v[152:153], v[150:151]
	v_pk_fma_f32 v[152:153], v[252:253], s[28:29], v[168:169] neg_lo:[1,0,0] neg_hi:[1,0,0]
	v_pk_fma_f32 v[180:181], v[252:253], s[28:29], v[168:169]
	v_pk_mul_f32 v[188:189], v[136:137], s[40:41]
	v_mov_b32_e32 v153, v181
	v_pk_add_f32 v[150:151], v[152:153], v[150:151]
	v_pk_fma_f32 v[152:153], v[138:139], s[20:21], v[188:189] neg_lo:[1,0,0] neg_hi:[1,0,0]
	v_pk_fma_f32 v[186:187], v[98:99], s[20:21], v[188:189]
	v_pk_mul_f32 v[194:195], v[140:141], s[48:49]
	v_mov_b32_e32 v153, v187
	v_pk_fma_f32 v[154:155], v[104:105], s[22:23], v[194:195] neg_lo:[1,0,0] neg_hi:[1,0,0]
	v_pk_fma_f32 v[196:197], v[104:105], s[22:23], v[194:195]
	v_pk_add_f32 v[152:153], v[82:83], v[152:153]
	v_mov_b32_e32 v155, v197
	v_pk_mul_f32 v[198:199], v[142:143], s[50:51]
	v_pk_add_f32 v[152:153], v[154:155], v[152:153]
	v_pk_fma_f32 v[154:155], v[110:111], s[42:43], v[198:199] neg_lo:[1,0,0] neg_hi:[1,0,0]
	v_pk_fma_f32 v[200:201], v[110:111], s[42:43], v[198:199]
	v_pk_mul_f32 v[208:209], v[146:147], s[34:35]
	v_mov_b32_e32 v155, v201
	v_pk_add_f32 v[152:153], v[154:155], v[152:153]
	v_pk_fma_f32 v[154:155], v[244:245], s[0:1], v[208:209] neg_lo:[1,0,0] neg_hi:[1,0,0]
	v_pk_fma_f32 v[214:215], v[244:245], s[0:1], v[208:209]
	v_pk_mul_f32 v[90:91], v[148:149], s[36:37]
	v_mov_b32_e32 v155, v215
	;; [unrolled: 5-line block ×3, first 2 shown]
	v_pk_add_f32 v[152:153], v[154:155], v[152:153]
	v_accvgpr_write_b32 a91, v115
	ds_write2_b64 v122, v[150:151], v[152:153] offset0:168 offset1:252
	v_pk_fma_f32 v[150:151], v[138:139], s[18:19], v[220:221] neg_lo:[1,0,0] neg_hi:[1,0,0]
	v_pk_fma_f32 v[224:225], v[98:99], s[18:19], v[220:221]
	v_pk_mul_f32 v[178:179], v[140:141], s[46:47]
	v_pk_mul_f32 v[114:115], v[136:137], s[30:31]
	v_mov_b32_e32 v151, v225
	v_pk_fma_f32 v[152:153], v[104:105], s[26:27], v[178:179] neg_lo:[1,0,0] neg_hi:[1,0,0]
	v_pk_fma_f32 v[226:227], v[104:105], s[26:27], v[178:179]
	v_pk_fma_f32 v[136:137], v[138:139], s[24:25], v[114:115] neg_lo:[1,0,0] neg_hi:[1,0,0]
	v_pk_fma_f32 v[202:203], v[98:99], s[24:25], v[114:115]
	v_pk_mul_f32 v[204:205], v[140:141], s[38:39]
	v_pk_add_f32 v[150:151], v[82:83], v[150:151]
	v_mov_b32_e32 v153, v227
	v_pk_mul_f32 v[228:229], v[142:143], s[34:35]
	v_mov_b32_e32 v137, v203
	v_pk_fma_f32 v[138:139], v[104:105], s[28:29], v[204:205] neg_lo:[1,0,0] neg_hi:[1,0,0]
	v_pk_fma_f32 v[172:173], v[104:105], s[28:29], v[204:205]
	v_accvgpr_write_b32 a110, v144
	v_pk_add_f32 v[150:151], v[152:153], v[150:151]
	v_pk_fma_f32 v[152:153], v[110:111], s[0:1], v[228:229] neg_lo:[1,0,0] neg_hi:[1,0,0]
	v_pk_fma_f32 v[144:145], v[110:111], s[0:1], v[228:229]
	v_pk_add_f32 v[136:137], v[82:83], v[136:137]
	v_mov_b32_e32 v139, v173
	v_pk_mul_f32 v[206:207], v[142:143], s[36:37]
	v_mov_b32_e32 v153, v145
	v_pk_mul_f32 v[176:177], v[146:147], s[30:31]
	v_pk_add_f32 v[136:137], v[138:139], v[136:137]
	v_pk_fma_f32 v[138:139], v[110:111], s[18:19], v[206:207] neg_lo:[1,0,0] neg_hi:[1,0,0]
	v_pk_fma_f32 v[212:213], v[110:111], s[18:19], v[206:207]
	v_accvgpr_write_b32 a65, v27
	v_accvgpr_write_b32 a108, v130
	v_pk_add_f32 v[150:151], v[152:153], v[150:151]
	v_pk_fma_f32 v[152:153], v[244:245], s[24:25], v[176:177] neg_lo:[1,0,0] neg_hi:[1,0,0]
	v_pk_fma_f32 v[182:183], v[244:245], s[24:25], v[176:177]
	v_mov_b32_e32 v139, v213
	v_pk_mul_f32 v[130:131], v[146:147], s[50:51]
	v_accvgpr_write_b32 a64, v26
	v_accvgpr_write_b32 a63, v25
	;; [unrolled: 1-line block ×4, first 2 shown]
	v_mov_b32_e32 v153, v183
	v_pk_mul_f32 v[94:95], v[148:149], s[50:51]
	v_pk_add_f32 v[136:137], v[138:139], v[136:137]
	v_pk_fma_f32 v[138:139], v[244:245], s[42:43], v[130:131] neg_lo:[1,0,0] neg_hi:[1,0,0]
	v_pk_fma_f32 v[184:185], v[244:245], s[42:43], v[130:131]
	v_pk_mul_f32 v[24:25], v[148:149], s[40:41]
	v_accvgpr_write_b32 a124, v92
	v_accvgpr_write_b32 a107, v13
	v_pk_add_f32 v[150:151], v[152:153], v[150:151]
	v_pk_fma_f32 v[152:153], v[252:253], s[42:43], v[94:95] neg_lo:[1,0,0] neg_hi:[1,0,0]
	v_pk_fma_f32 v[92:93], v[252:253], s[42:43], v[94:95]
	v_mov_b32_e32 v139, v185
	v_pk_fma_f32 v[26:27], v[252:253], s[20:21], v[24:25] neg_lo:[1,0,0] neg_hi:[1,0,0]
	v_pk_fma_f32 v[12:13], v[252:253], s[20:21], v[24:25]
	v_mov_b32_e32 v153, v93
	v_pk_add_f32 v[136:137], v[138:139], v[136:137]
	v_mov_b32_e32 v27, v13
	v_accvgpr_write_b32 a122, v14
	v_pk_add_f32 v[150:151], v[152:153], v[150:151]
	v_pk_add_f32 v[14:15], v[26:27], v[136:137]
	v_add_u32_e32 v37, 0x800, v122
	ds_write2_b64 v37, v[150:151], v[14:15] offset0:80 offset1:164
	v_pk_add_f32 v[246:247], v[116:117], v[192:193]
	s_mov_b32 s34, s21
	v_pk_mul_f32 v[14:15], v[232:233], s[20:21] op_sel:[1,0] op_sel_hi:[0,0]
	v_pk_fma_f32 v[142:143], v[246:247], s[34:35], v[14:15] op_sel_hi:[1,0,1]
	v_pk_fma_f32 v[140:141], v[246:247], s[34:35], v[14:15] op_sel_hi:[1,0,1] neg_lo:[0,0,1] neg_hi:[0,0,1]
	v_mov_b32_e32 v14, v142
	v_mov_b32_e32 v15, v141
	s_mov_b32 s50, s25
	v_pk_add_f32 v[14:15], v[14:15], v[118:119]
	v_pk_fma_f32 v[138:139], v[246:247], s[50:51], v[238:239] op_sel_hi:[1,0,1]
	v_pk_fma_f32 v[136:137], v[246:247], s[50:51], v[238:239] op_sel_hi:[1,0,1] neg_lo:[0,0,1] neg_hi:[0,0,1]
	v_pk_add_f32 v[238:239], v[190:191], v[88:89]
	v_pk_mul_f32 v[118:119], v[234:235], s[18:19] op_sel:[1,0] op_sel_hi:[0,0]
	v_pk_fma_f32 v[152:153], v[238:239], s[44:45], v[118:119] op_sel_hi:[1,0,1]
	v_pk_fma_f32 v[150:151], v[238:239], s[44:45], v[118:119] op_sel_hi:[1,0,1] neg_lo:[0,0,1] neg_hi:[0,0,1]
	v_mov_b32_e32 v26, v138
	v_mov_b32_e32 v27, v137
	;; [unrolled: 1-line block ×4, first 2 shown]
	v_pk_fma_f32 v[148:149], v[238:239], s[34:35], v[240:241] op_sel_hi:[1,0,1]
	v_pk_fma_f32 v[146:147], v[238:239], s[34:35], v[240:241] op_sel_hi:[1,0,1] neg_lo:[0,0,1] neg_hi:[0,0,1]
	v_pk_add_f32 v[26:27], v[26:27], v[120:121]
	v_pk_add_f32 v[14:15], v[118:119], v[14:15]
	v_mov_b32_e32 v118, v148
	v_mov_b32_e32 v119, v147
	v_pk_add_f32 v[26:27], v[118:119], v[26:27]
	v_pk_add_f32 v[240:241], v[96:97], v[210:211]
	v_pk_mul_f32 v[118:119], v[236:237], s[24:25] op_sel:[1,0] op_sel_hi:[0,0]
	v_pk_fma_f32 v[158:159], v[240:241], s[50:51], v[118:119] op_sel_hi:[1,0,1]
	v_pk_fma_f32 v[156:157], v[240:241], s[50:51], v[118:119] op_sel_hi:[1,0,1] neg_lo:[0,0,1] neg_hi:[0,0,1]
	s_mov_b32 s34, s1
	v_mov_b32_e32 v118, v158
	v_mov_b32_e32 v119, v157
	v_pk_fma_f32 v[154:155], v[240:241], s[34:35], v[242:243] op_sel_hi:[1,0,1]
	v_pk_fma_f32 v[242:243], v[240:241], s[34:35], v[242:243] op_sel_hi:[1,0,1] neg_lo:[0,0,1] neg_hi:[0,0,1]
	v_pk_add_f32 v[118:119], v[118:119], v[14:15]
	v_mov_b32_e32 v14, v154
	v_mov_b32_e32 v15, v243
	v_pk_add_f32 v[120:121], v[14:15], v[26:27]
	v_pk_fma_f32 v[14:15], v[98:99], s[24:25], v[114:115] neg_lo:[0,0,1] neg_hi:[0,0,1]
	v_pk_fma_f32 v[26:27], v[110:111], s[18:19], v[206:207] neg_lo:[0,0,1] neg_hi:[0,0,1]
	v_mov_b32_e32 v203, v15
	v_pk_fma_f32 v[14:15], v[104:105], s[28:29], v[204:205] neg_lo:[0,0,1] neg_hi:[0,0,1]
	v_mov_b32_e32 v213, v27
	v_mov_b32_e32 v173, v15
	v_pk_add_f32 v[14:15], v[82:83], v[202:203]
	v_pk_fma_f32 v[26:27], v[244:245], s[42:43], v[130:131] neg_lo:[0,0,1] neg_hi:[0,0,1]
	v_pk_add_f32 v[14:15], v[172:173], v[14:15]
	v_mov_b32_e32 v185, v27
	v_pk_add_f32 v[14:15], v[212:213], v[14:15]
	v_pk_fma_f32 v[24:25], v[252:253], s[20:21], v[24:25] neg_lo:[0,0,1] neg_hi:[0,0,1]
	v_pk_add_f32 v[14:15], v[184:185], v[14:15]
	v_mov_b32_e32 v13, v25
	v_pk_add_f32 v[12:13], v[12:13], v[14:15]
	v_pk_fma_f32 v[14:15], v[98:99], s[18:19], v[220:221] neg_lo:[0,0,1] neg_hi:[0,0,1]
	v_pk_fma_f32 v[24:25], v[104:105], s[26:27], v[178:179] neg_lo:[0,0,1] neg_hi:[0,0,1]
	v_mov_b32_e32 v225, v15
	v_pk_add_f32 v[14:15], v[82:83], v[224:225]
	v_mov_b32_e32 v227, v25
	v_pk_fma_f32 v[24:25], v[110:111], s[0:1], v[228:229] neg_lo:[0,0,1] neg_hi:[0,0,1]
	v_pk_add_f32 v[14:15], v[226:227], v[14:15]
	v_mov_b32_e32 v145, v25
	v_pk_fma_f32 v[24:25], v[244:245], s[24:25], v[176:177] neg_lo:[0,0,1] neg_hi:[0,0,1]
	;; [unrolled: 3-line block ×3, first 2 shown]
	v_pk_add_f32 v[14:15], v[182:183], v[14:15]
	v_mov_b32_e32 v93, v25
	v_pk_add_f32 v[14:15], v[92:93], v[14:15]
	ds_write2_b64 v45, v[12:13], v[14:15] offset0:120 offset1:204
	v_pk_fma_f32 v[14:15], v[104:105], s[22:23], v[194:195] neg_lo:[0,0,1] neg_hi:[0,0,1]
	v_pk_fma_f32 v[12:13], v[98:99], s[20:21], v[188:189] neg_lo:[0,0,1] neg_hi:[0,0,1]
	v_mov_b32_e32 v197, v15
	v_pk_fma_f32 v[14:15], v[110:111], s[42:43], v[198:199] neg_lo:[0,0,1] neg_hi:[0,0,1]
	v_mov_b32_e32 v187, v13
	v_mov_b32_e32 v201, v15
	v_pk_fma_f32 v[14:15], v[244:245], s[0:1], v[208:209] neg_lo:[0,0,1] neg_hi:[0,0,1]
	v_pk_fma_f32 v[24:25], v[104:105], s[18:19], v[134:135] neg_lo:[0,0,1] neg_hi:[0,0,1]
	v_mov_b32_e32 v215, v15
	v_pk_fma_f32 v[14:15], v[252:253], s[18:19], v[90:91] neg_lo:[0,0,1] neg_hi:[0,0,1]
	v_pk_add_f32 v[12:13], v[82:83], v[186:187]
	v_mov_b32_e32 v217, v15
	v_pk_fma_f32 v[14:15], v[98:99], s[16:17], v[128:129] neg_lo:[0,0,1] neg_hi:[0,0,1]
	v_mov_b32_e32 v133, v25
	v_mov_b32_e32 v127, v15
	v_pk_add_f32 v[14:15], v[82:83], v[126:127]
	v_pk_fma_f32 v[24:25], v[110:111], s[22:23], v[160:161] neg_lo:[0,0,1] neg_hi:[0,0,1]
	v_pk_add_f32 v[12:13], v[196:197], v[12:13]
	v_pk_add_f32 v[14:15], v[132:133], v[14:15]
	v_mov_b32_e32 v163, v25
	v_pk_fma_f32 v[24:25], v[244:245], s[26:27], v[164:165] neg_lo:[0,0,1] neg_hi:[0,0,1]
	v_pk_add_f32 v[12:13], v[200:201], v[12:13]
	v_pk_add_f32 v[14:15], v[162:163], v[14:15]
	v_mov_b32_e32 v167, v25
	;; [unrolled: 4-line block ×3, first 2 shown]
	v_pk_add_f32 v[12:13], v[216:217], v[12:13]
	v_pk_add_f32 v[14:15], v[180:181], v[14:15]
	v_add_u32_e32 v89, 0x1000, v122
	ds_write2_b64 v89, v[12:13], v[14:15] offset0:160 offset1:244
	v_pk_fma_f32 v[12:13], v[98:99], s[0:1], v[102:103] neg_lo:[0,0,1] neg_hi:[0,0,1]
	v_pk_fma_f32 v[14:15], v[104:105], s[16:17], v[108:109] neg_lo:[0,0,1] neg_hi:[0,0,1]
	v_mov_b32_e32 v101, v13
	v_pk_add_f32 v[12:13], v[82:83], v[100:101]
	v_mov_b32_e32 v107, v15
	v_pk_fma_f32 v[14:15], v[110:111], s[20:21], v[230:231] neg_lo:[0,0,1] neg_hi:[0,0,1]
	v_pk_add_f32 v[12:13], v[106:107], v[12:13]
	v_mov_b32_e32 v113, v15
	v_pk_fma_f32 v[14:15], v[244:245], s[18:19], v[250:251] neg_lo:[0,0,1] neg_hi:[0,0,1]
	;; [unrolled: 3-line block ×3, first 2 shown]
	v_pk_add_f32 v[12:13], v[248:249], v[12:13]
	v_mov_b32_e32 v255, v15
	v_pk_add_f32 v[12:13], v[254:255], v[12:13]
	ds_write_b64 v122, v[12:13] offset:6720
	s_and_saveexec_b64 s[34:35], s[2:3]
	s_cbranch_execz .LBB0_15
; %bb.14:
	v_accvgpr_read_b32 v92, a120
	v_pk_mul_f32 v[14:15], v[40:41], s[16:17]
	v_accvgpr_read_b32 v93, a121
	v_add_f32_e32 v42, v79, v42
	v_pk_add_f32 v[14:15], v[92:93], v[14:15] neg_lo:[0,1] neg_hi:[0,1]
	v_accvgpr_read_b32 v92, a118
	v_add_f32_e32 v42, v42, v50
	v_accvgpr_read_b32 v50, a106
	v_pk_mul_f32 v[12:13], v[40:41], s[0:1]
	v_accvgpr_read_b32 v93, a119
	v_add_f32_e32 v42, v42, v50
	v_accvgpr_read_b32 v50, a110
	v_pk_add_f32 v[12:13], v[92:93], v[12:13] neg_lo:[0,1] neg_hi:[0,1]
	v_add_f32_e32 v42, v42, v50
	v_accvgpr_read_b32 v93, a103
	v_add_f32_e32 v42, v42, v93
	v_accvgpr_read_b32 v93, a109
	v_add_f32_e32 v42, v42, v93
	v_accvgpr_read_b32 v50, a108
	v_add_f32_e32 v42, v42, v50
	v_accvgpr_read_b32 v50, a112
	v_add_f32_e32 v42, v42, v50
	v_accvgpr_read_b32 v50, a114
	v_add_f32_e32 v42, v42, v50
	v_accvgpr_read_b32 v50, a116
	v_add_f32_e32 v93, v42, v50
	v_add_f32_e32 v42, v78, v52
	v_accvgpr_read_b32 v50, a100
	v_add_f32_e32 v42, v42, v50
	v_add_f32_e32 v42, v42, v116
	;; [unrolled: 1-line block ×3, first 2 shown]
	v_accvgpr_read_b32 v13, a91
	v_add_f32_e32 v42, v42, v96
	v_add_f32_e32 v42, v42, v210
	v_pk_add_f32 v[12:13], v[78:79], v[12:13]
	v_accvgpr_read_b32 v219, a105
	v_add_f32_e32 v42, v42, v88
	v_pk_add_f32 v[12:13], v[218:219], v[12:13]
	v_mov_b32_e32 v141, v143
	v_add_f32_e32 v42, v42, v192
	v_accvgpr_read_b32 v50, a102
	v_pk_add_f32 v[12:13], v[140:141], v[12:13]
	v_mov_b32_e32 v151, v153
	v_add_f32_e32 v42, v42, v50
	v_accvgpr_read_b32 v50, a104
	v_pk_add_f32 v[12:13], v[150:151], v[12:13]
	v_mov_b32_e32 v157, v159
	v_accvgpr_read_b32 v15, a101
	v_add_f32_e32 v92, v42, v50
	v_pk_add_f32 v[12:13], v[156:157], v[12:13]
	v_accvgpr_read_b32 v87, a122
	ds_write2_b64 v122, v[92:93], v[12:13] offset0:44 offset1:128
	v_pk_add_f32 v[12:13], v[78:79], v[14:15]
	v_pk_mul_f32 v[14:15], v[84:85], s[40:41]
	v_accvgpr_read_b32 v81, a124
	v_pk_mul_f32 v[90:91], v[86:87], s[48:49]
	v_pk_fma_f32 v[92:93], v[40:41], s[20:21], v[14:15] neg_lo:[1,0,0] neg_hi:[1,0,0]
	v_pk_fma_f32 v[94:95], v[40:41], s[20:21], v[14:15]
	v_pk_fma_f32 v[96:97], v[80:81], s[22:23], v[90:91] neg_lo:[1,0,0] neg_hi:[1,0,0]
	v_mov_b32_e32 v93, v95
	v_pk_fma_f32 v[98:99], v[80:81], s[22:23], v[90:91]
	v_mov_b32_e32 v24, v233
	v_mov_b32_e32 v25, v232
	v_pk_add_f32 v[92:93], v[78:79], v[92:93]
	v_mov_b32_e32 v97, v99
	v_pk_add_f32 v[92:93], v[96:97], v[92:93]
	s_mov_b32 s16, s17
	v_pk_mul_f32 v[96:97], v[24:25], s[42:43] op_sel_hi:[1,0]
	v_mov_b32_e32 v26, v235
	v_pk_fma_f32 v[100:101], v[246:247], s[16:17], v[96:97] op_sel_hi:[1,0,1] neg_lo:[0,0,1] neg_hi:[0,0,1]
	v_pk_fma_f32 v[96:97], v[246:247], s[16:17], v[96:97] op_sel_hi:[1,0,1]
	v_mov_b32_e32 v27, v234
	v_mov_b32_e32 v102, v100
	v_mov_b32_e32 v103, v97
	v_pk_add_f32 v[92:93], v[102:103], v[92:93]
	s_mov_b32 s40, s1
	v_pk_mul_f32 v[102:103], v[26:27], s[0:1] op_sel_hi:[1,0]
	v_mov_b32_e32 v82, v237
	v_pk_fma_f32 v[104:105], v[238:239], s[40:41], v[102:103] op_sel_hi:[1,0,1] neg_lo:[0,0,1] neg_hi:[0,0,1]
	v_pk_fma_f32 v[102:103], v[238:239], s[40:41], v[102:103] op_sel_hi:[1,0,1]
	v_mov_b32_e32 v83, v236
	v_accvgpr_read_b32 v223, a107
	v_mov_b32_e32 v106, v104
	v_mov_b32_e32 v107, v103
	v_pk_add_f32 v[12:13], v[222:223], v[12:13]
	v_mov_b32_e32 v137, v139
	v_pk_add_f32 v[92:93], v[106:107], v[92:93]
	s_mov_b32 s44, s19
	v_pk_mul_f32 v[106:107], v[82:83], s[18:19] op_sel_hi:[1,0]
	v_pk_add_f32 v[12:13], v[136:137], v[12:13]
	v_mov_b32_e32 v147, v149
	v_pk_fma_f32 v[108:109], v[240:241], s[44:45], v[106:107] op_sel_hi:[1,0,1] neg_lo:[0,0,1] neg_hi:[0,0,1]
	v_pk_fma_f32 v[106:107], v[240:241], s[44:45], v[106:107] op_sel_hi:[1,0,1]
	v_pk_add_f32 v[12:13], v[146:147], v[12:13]
	v_mov_b32_e32 v243, v155
	v_mov_b32_e32 v110, v108
	;; [unrolled: 1-line block ×3, first 2 shown]
	v_pk_add_f32 v[12:13], v[242:243], v[12:13]
	v_pk_add_f32 v[92:93], v[110:111], v[92:93]
	v_add_u32_e32 v42, 0x400, v122
	ds_write2_b64 v42, v[12:13], v[92:93] offset0:84 offset1:168
	v_pk_mul_f32 v[12:13], v[84:85], s[36:37]
	v_pk_mul_f32 v[92:93], v[86:87], s[46:47]
	v_pk_fma_f32 v[116:117], v[40:41], s[18:19], v[12:13] neg_lo:[1,0,0] neg_hi:[1,0,0]
	v_pk_fma_f32 v[124:125], v[40:41], s[18:19], v[12:13]
	v_pk_fma_f32 v[126:127], v[80:81], s[26:27], v[92:93] neg_lo:[1,0,0] neg_hi:[1,0,0]
	v_mov_b32_e32 v117, v125
	v_pk_fma_f32 v[128:129], v[80:81], s[26:27], v[92:93]
	v_pk_mul_f32 v[110:111], v[24:25], s[0:1] op_sel_hi:[1,0]
	v_pk_add_f32 v[116:117], v[78:79], v[116:117]
	v_mov_b32_e32 v127, v129
	v_pk_add_f32 v[116:117], v[126:127], v[116:117]
	v_pk_fma_f32 v[126:127], v[246:247], s[40:41], v[110:111] op_sel_hi:[1,0,1] neg_lo:[0,0,1] neg_hi:[0,0,1]
	v_pk_fma_f32 v[110:111], v[246:247], s[40:41], v[110:111] op_sel_hi:[1,0,1]
	s_mov_b32 s0, s25
	v_pk_mul_f32 v[112:113], v[26:27], s[24:25] op_sel_hi:[1,0]
	v_mov_b32_e32 v130, v126
	v_mov_b32_e32 v131, v111
	v_pk_add_f32 v[116:117], v[130:131], v[116:117]
	v_pk_fma_f32 v[130:131], v[238:239], s[0:1], v[112:113] op_sel_hi:[1,0,1] neg_lo:[0,0,1] neg_hi:[0,0,1]
	v_pk_fma_f32 v[112:113], v[238:239], s[0:1], v[112:113] op_sel_hi:[1,0,1]
	v_pk_mul_f32 v[114:115], v[82:83], s[42:43] op_sel_hi:[1,0]
	v_mov_b32_e32 v132, v130
	v_mov_b32_e32 v133, v113
	v_pk_add_f32 v[116:117], v[132:133], v[116:117]
	v_pk_fma_f32 v[132:133], v[240:241], s[16:17], v[114:115] op_sel_hi:[1,0,1] neg_lo:[0,0,1] neg_hi:[0,0,1]
	v_pk_fma_f32 v[114:115], v[240:241], s[16:17], v[114:115] op_sel_hi:[1,0,1]
	v_mov_b32_e32 v134, v132
	v_mov_b32_e32 v135, v115
	v_pk_mul_f32 v[84:85], v[84:85], s[30:31]
	v_pk_add_f32 v[116:117], v[134:135], v[116:117]
	v_pk_fma_f32 v[134:135], v[40:41], s[24:25], v[84:85] neg_lo:[1,0,0] neg_hi:[1,0,0]
	v_pk_fma_f32 v[136:137], v[40:41], s[24:25], v[84:85]
	v_pk_mul_f32 v[86:87], v[86:87], s[38:39]
	v_mov_b32_e32 v135, v137
	v_pk_fma_f32 v[138:139], v[80:81], s[28:29], v[86:87] neg_lo:[1,0,0] neg_hi:[1,0,0]
	v_pk_fma_f32 v[140:141], v[80:81], s[28:29], v[86:87]
	v_pk_add_f32 v[134:135], v[78:79], v[134:135]
	v_mov_b32_e32 v139, v141
	v_pk_mul_f32 v[24:25], v[24:25], s[18:19] op_sel_hi:[1,0]
	v_pk_fma_f32 v[84:85], v[40:41], s[24:25], v[84:85] neg_lo:[0,0,1] neg_hi:[0,0,1]
	v_pk_add_f32 v[134:135], v[138:139], v[134:135]
	v_pk_fma_f32 v[138:139], v[246:247], s[44:45], v[24:25] op_sel_hi:[1,0,1] neg_lo:[0,0,1] neg_hi:[0,0,1]
	v_pk_fma_f32 v[24:25], v[246:247], s[44:45], v[24:25] op_sel_hi:[1,0,1]
	v_mov_b32_e32 v137, v85
	v_pk_fma_f32 v[86:87], v[80:81], s[28:29], v[86:87] neg_lo:[0,0,1] neg_hi:[0,0,1]
	v_mov_b32_e32 v142, v138
	v_mov_b32_e32 v143, v25
	v_pk_mul_f32 v[26:27], v[26:27], s[42:43] op_sel_hi:[1,0]
	v_pk_add_f32 v[84:85], v[78:79], v[136:137]
	v_mov_b32_e32 v141, v87
	v_pk_add_f32 v[134:135], v[142:143], v[134:135]
	v_pk_fma_f32 v[142:143], v[238:239], s[16:17], v[26:27] op_sel_hi:[1,0,1] neg_lo:[0,0,1] neg_hi:[0,0,1]
	v_pk_fma_f32 v[26:27], v[238:239], s[16:17], v[26:27] op_sel_hi:[1,0,1]
	v_pk_add_f32 v[84:85], v[140:141], v[84:85]
	v_mov_b32_e32 v25, v139
	v_mov_b32_e32 v145, v27
	v_pk_add_f32 v[24:25], v[24:25], v[84:85]
	v_mov_b32_e32 v27, v143
	v_pk_fma_f32 v[12:13], v[40:41], s[18:19], v[12:13] neg_lo:[0,0,1] neg_hi:[0,0,1]
	v_pk_add_f32 v[24:25], v[26:27], v[24:25]
	v_mov_b32_e32 v125, v13
	v_pk_fma_f32 v[26:27], v[80:81], s[26:27], v[92:93] neg_lo:[0,0,1] neg_hi:[0,0,1]
	v_pk_add_f32 v[12:13], v[78:79], v[124:125]
	v_mov_b32_e32 v129, v27
	v_mov_b32_e32 v144, v142
	s_mov_b32 s0, s21
	v_pk_mul_f32 v[82:83], v[82:83], s[20:21] op_sel_hi:[1,0]
	v_pk_add_f32 v[12:13], v[128:129], v[12:13]
	v_mov_b32_e32 v111, v127
	v_pk_add_f32 v[134:135], v[144:145], v[134:135]
	v_pk_fma_f32 v[144:145], v[240:241], s[0:1], v[82:83] op_sel_hi:[1,0,1] neg_lo:[0,0,1] neg_hi:[0,0,1]
	v_pk_fma_f32 v[82:83], v[240:241], s[0:1], v[82:83] op_sel_hi:[1,0,1]
	v_pk_add_f32 v[12:13], v[110:111], v[12:13]
	v_mov_b32_e32 v113, v131
	v_mov_b32_e32 v147, v83
	;; [unrolled: 1-line block ×3, first 2 shown]
	v_pk_add_f32 v[12:13], v[112:113], v[12:13]
	v_mov_b32_e32 v115, v133
	v_pk_add_f32 v[24:25], v[82:83], v[24:25]
	v_pk_add_f32 v[12:13], v[114:115], v[12:13]
	ds_write2_b64 v89, v[24:25], v[12:13] offset0:36 offset1:120
	v_pk_fma_f32 v[12:13], v[80:81], s[22:23], v[90:91] neg_lo:[0,0,1] neg_hi:[0,0,1]
	v_mov_b32_e32 v97, v101
	v_mov_b32_e32 v99, v13
	v_pk_fma_f32 v[12:13], v[40:41], s[20:21], v[14:15] neg_lo:[0,0,1] neg_hi:[0,0,1]
	v_mov_b32_e32 v103, v105
	v_mov_b32_e32 v95, v13
	v_pk_add_f32 v[12:13], v[78:79], v[94:95]
	v_mov_b32_e32 v146, v144
	v_pk_add_f32 v[12:13], v[98:99], v[12:13]
	;; [unrolled: 2-line block ×3, first 2 shown]
	v_pk_add_f32 v[134:135], v[146:147], v[134:135]
	v_pk_add_f32 v[12:13], v[102:103], v[12:13]
	v_add_u32_e32 v14, 0x1400, v122
	v_pk_add_f32 v[12:13], v[106:107], v[12:13]
	ds_write2_b64 v37, v[116:117], v[134:135] offset0:124 offset1:208
	ds_write2_b64 v14, v[12:13], v[120:121] offset0:76 offset1:160
	ds_write_b64 v122, v[118:119] offset:7072
.LBB0_15:
	s_or_b64 exec, exec, s[34:35]
	v_accvgpr_read_b32 v144, a6
	v_lshlrev_b32_e32 v12, 3, v144
	v_mov_b32_e32 v13, 0
	v_lshl_add_u64 v[12:13], s[14:15], 0, v[12:13]
	s_mov_b64 s[0:1], 0x1ce0
	v_lshl_add_u64 v[40:41], v[12:13], 0, s[0:1]
	s_waitcnt lgkmcnt(0)
	; wave barrier
	s_waitcnt lgkmcnt(0)
	global_load_dwordx2 v[24:25], v[40:41], off offset:352
	v_add_co_u32_e32 v14, vcc, 0x1000, v12
	s_movk_i32 s0, 0x2000
	s_nop 0
	v_addc_co_u32_e32 v15, vcc, 0, v13, vcc
	global_load_dwordx2 v[14:15], v[14:15], off offset:3296
	s_nop 0
	global_load_dwordx2 v[26:27], v[40:41], off offset:3696
	global_load_dwordx2 v[86:87], v[40:41], off offset:4048
	;; [unrolled: 1-line block ×3, first 2 shown]
	v_add_co_u32_e32 v78, vcc, s0, v12
	s_movk_i32 s0, 0x3000
	s_nop 0
	v_addc_co_u32_e32 v79, vcc, 0, v13, vcc
	global_load_dwordx2 v[104:105], v[78:79], off offset:3600
	global_load_dwordx2 v[106:107], v[78:79], off offset:3952
	;; [unrolled: 1-line block ×4, first 2 shown]
	v_add_co_u32_e32 v12, vcc, s0, v12
	s_nop 1
	v_addc_co_u32_e32 v13, vcc, 0, v13, vcc
	global_load_dwordx2 v[112:113], v[12:13], off offset:208
	global_load_dwordx2 v[114:115], v[40:41], off offset:1760
	global_load_dwordx2 v[116:117], v[12:13], off offset:560
	global_load_dwordx2 v[124:125], v[40:41], off offset:2112
	global_load_dwordx2 v[126:127], v[12:13], off offset:912
	global_load_dwordx2 v[128:129], v[40:41], off offset:2464
	ds_read2_b64 v[78:81], v122 offset1:44
	global_load_dwordx2 v[130:131], v[40:41], off offset:2816
	global_load_dwordx2 v[132:133], v[12:13], off offset:1264
	global_load_dwordx2 v[134:135], v[12:13], off offset:1616
	s_nop 0
	global_load_dwordx2 v[12:13], v[12:13], off offset:1968
	s_nop 0
	global_load_dwordx2 v[136:137], v[40:41], off offset:3168
	s_waitcnt vmcnt(19) lgkmcnt(0)
	v_mul_f32_e32 v42, v81, v25
	v_mul_f32_e32 v139, v80, v25
	v_fma_f32 v138, v80, v24, -v42
	s_waitcnt vmcnt(18)
	v_mul_f32_e32 v50, v79, v15
	v_mul_f32_e32 v25, v78, v15
	v_fmac_f32_e32 v139, v81, v24
	v_fma_f32 v24, v78, v14, -v50
	v_fmac_f32_e32 v25, v79, v14
	ds_write_b64 v122, v[24:25]
	ds_read2_b64 v[78:81], v37 offset0:206 offset1:250
	ds_read2_b64 v[82:85], v122 offset0:88 offset1:132
	;; [unrolled: 1-line block ×5, first 2 shown]
	s_waitcnt vmcnt(17) lgkmcnt(4)
	v_mul_f32_e32 v14, v79, v27
	v_mul_f32_e32 v15, v78, v27
	s_waitcnt vmcnt(15) lgkmcnt(3)
	v_mul_f32_e32 v42, v83, v103
	v_mul_f32_e32 v27, v82, v103
	;; [unrolled: 1-line block ×4, first 2 shown]
	s_waitcnt vmcnt(14) lgkmcnt(2)
	v_mul_f32_e32 v50, v91, v105
	v_mul_f32_e32 v87, v90, v105
	s_waitcnt vmcnt(12)
	v_mul_f32_e32 v52, v85, v109
	v_mul_f32_e32 v103, v84, v109
	;; [unrolled: 1-line block ×4, first 2 shown]
	s_waitcnt vmcnt(11) lgkmcnt(1)
	v_mul_f32_e32 v140, v95, v111
	v_mul_f32_e32 v107, v94, v111
	s_waitcnt vmcnt(10) lgkmcnt(0)
	v_mul_f32_e32 v111, v99, v113
	v_mul_f32_e32 v109, v98, v113
	v_fma_f32 v14, v78, v26, -v14
	v_fmac_f32_e32 v15, v79, v26
	v_fma_f32 v26, v82, v102, -v42
	v_fmac_f32_e32 v27, v83, v102
	;; [unrolled: 2-line block ×8, first 2 shown]
	ds_write2_b64 v122, v[138:139], v[26:27] offset0:44 offset1:88
	ds_write2_b64 v45, v[24:25], v[86:87] offset0:122 offset1:166
	;; [unrolled: 1-line block ×4, first 2 shown]
	ds_read2_b64 v[78:81], v37 offset0:8 offset1:52
	s_waitcnt vmcnt(9)
	v_mul_f32_e32 v113, v97, v115
	v_mul_f32_e32 v25, v96, v115
	v_fma_f32 v24, v96, v114, -v113
	v_fmac_f32_e32 v25, v97, v114
	s_waitcnt vmcnt(7) lgkmcnt(0)
	v_mul_f32_e32 v42, v79, v125
	v_fma_f32 v86, v78, v124, -v42
	v_add_u32_e32 v42, 0x1400, v122
	ds_read2_b64 v[82:85], v42 offset0:86 offset1:130
	v_mul_f32_e32 v87, v78, v125
	v_fmac_f32_e32 v87, v79, v124
	v_add_u32_e32 v45, 0x400, v122
	v_mul_f32_e32 v26, v101, v117
	v_mul_f32_e32 v27, v100, v117
	ds_write2_b64 v45, v[24:25], v[86:87] offset0:92 offset1:136
	s_waitcnt vmcnt(6) lgkmcnt(1)
	v_mul_f32_e32 v24, v83, v127
	v_mul_f32_e32 v25, v82, v127
	v_fma_f32 v26, v100, v116, -v26
	v_fmac_f32_e32 v27, v101, v116
	v_fma_f32 v24, v82, v126, -v24
	v_fmac_f32_e32 v25, v83, v126
	ds_write2_b64 v89, v[26:27], v[24:25] offset0:170 offset1:214
	s_waitcnt vmcnt(5)
	v_mul_f32_e32 v24, v81, v129
	v_mul_f32_e32 v25, v80, v129
	v_fma_f32 v24, v80, v128, -v24
	v_fmac_f32_e32 v25, v81, v128
	ds_read2_b64 v[78:81], v37 offset0:96 offset1:140
	s_waitcnt vmcnt(3)
	v_mul_f32_e32 v26, v85, v133
	v_mul_f32_e32 v27, v84, v133
	v_add_u32_e32 v45, 0x1800, v122
	v_fma_f32 v26, v84, v132, -v26
	v_fmac_f32_e32 v27, v85, v132
	ds_read2_b64 v[82:85], v45 offset0:46 offset1:90
	s_waitcnt lgkmcnt(1)
	v_mul_f32_e32 v50, v79, v131
	v_mul_f32_e32 v87, v78, v131
	v_fma_f32 v86, v78, v130, -v50
	v_fmac_f32_e32 v87, v79, v130
	ds_write2_b64 v37, v[24:25], v[86:87] offset0:52 offset1:96
	s_waitcnt vmcnt(2) lgkmcnt(1)
	v_mul_f32_e32 v24, v83, v135
	v_mul_f32_e32 v25, v82, v135
	v_fma_f32 v24, v82, v134, -v24
	v_fmac_f32_e32 v25, v83, v134
	ds_write2_b64 v45, v[26:27], v[24:25] offset0:2 offset1:46
	s_waitcnt vmcnt(0)
	v_mul_f32_e32 v24, v81, v137
	v_mul_f32_e32 v25, v80, v137
	v_fma_f32 v24, v80, v136, -v24
	v_fmac_f32_e32 v25, v81, v136
	ds_write2_b64 v37, v[24:25], v[14:15] offset0:140 offset1:206
	v_mul_f32_e32 v14, v85, v13
	v_mul_f32_e32 v15, v84, v13
	v_fma_f32 v14, v84, v12, -v14
	v_fmac_f32_e32 v15, v85, v12
	ds_write_b64 v122, v[14:15] offset:6864
	s_and_saveexec_b64 s[0:1], s[6:7]
	s_cbranch_execz .LBB0_17
; %bb.16:
	v_add_co_u32_e32 v14, vcc, 0x1000, v40
	global_load_dwordx2 v[12:13], v[40:41], off offset:3520
	s_nop 0
	v_addc_co_u32_e32 v15, vcc, 0, v41, vcc
	global_load_dwordx2 v[14:15], v[14:15], off offset:3120
	ds_read_b64 v[24:25], v122 offset:3520
	ds_read_b64 v[26:27], v122 offset:7216
	s_waitcnt vmcnt(1) lgkmcnt(1)
	v_mul_f32_e32 v37, v25, v13
	v_mul_f32_e32 v41, v24, v13
	v_fma_f32 v40, v24, v12, -v37
	v_fmac_f32_e32 v41, v25, v12
	s_waitcnt vmcnt(0) lgkmcnt(0)
	v_mul_f32_e32 v12, v27, v15
	v_mul_f32_e32 v13, v26, v15
	v_fma_f32 v12, v26, v14, -v12
	v_fmac_f32_e32 v13, v27, v14
	ds_write_b64 v122, v[40:41] offset:3520
	ds_write_b64 v122, v[12:13] offset:7216
.LBB0_17:
	s_or_b64 exec, exec, s[0:1]
	v_add_u32_e32 v12, 0x800, v122
	v_add_u32_e32 v13, 0x1000, v122
	s_waitcnt lgkmcnt(0)
	; wave barrier
	s_waitcnt lgkmcnt(0)
	ds_read2_b64 v[98:101], v122 offset1:44
	ds_read2_b64 v[114:117], v12 offset0:206 offset1:250
	ds_read2_b64 v[94:97], v122 offset0:88 offset1:132
	;; [unrolled: 1-line block ×9, first 2 shown]
	v_accvgpr_read_b32 v12, a73
	v_lshlrev_b32_e32 v41, 3, v12
	v_accvgpr_read_b32 v12, a77
	v_lshlrev_b32_e32 v40, 3, v12
	;; [unrolled: 2-line block ×3, first 2 shown]
	s_and_saveexec_b64 s[0:1], s[6:7]
	s_cbranch_execz .LBB0_19
; %bb.18:
	ds_read_b64 v[120:121], v122 offset:3520
	ds_read_b64 v[118:119], v122 offset:7216
.LBB0_19:
	s_or_b64 exec, exec, s[0:1]
	s_waitcnt lgkmcnt(8)
	v_pk_add_f32 v[114:115], v[98:99], v[114:115] neg_lo:[0,1] neg_hi:[0,1]
	v_pk_add_f32 v[116:117], v[100:101], v[116:117] neg_lo:[0,1] neg_hi:[0,1]
	s_waitcnt lgkmcnt(6)
	v_pk_add_f32 v[126:127], v[96:97], v[112:113] neg_lo:[0,1] neg_hi:[0,1]
	v_pk_fma_f32 v[112:113], v[98:99], 2.0, v[114:115] op_sel_hi:[1,0,1] neg_lo:[0,0,1] neg_hi:[0,0,1]
	v_accvgpr_read_b32 v12, a46
	v_pk_add_f32 v[110:111], v[94:95], v[110:111] neg_lo:[0,1] neg_hi:[0,1]
	s_waitcnt lgkmcnt(0)
	; wave barrier
	s_waitcnt lgkmcnt(0)
	ds_write_b128 v12, v[112:115]
	v_pk_fma_f32 v[114:115], v[100:101], 2.0, v[116:117] op_sel_hi:[1,0,1] neg_lo:[0,0,1] neg_hi:[0,0,1]
	v_accvgpr_read_b32 v12, a47
	v_pk_add_f32 v[128:129], v[92:93], v[108:109] neg_lo:[0,1] neg_hi:[0,1]
	ds_write_b128 v12, v[114:117]
	v_pk_fma_f32 v[108:109], v[94:95], 2.0, v[110:111] op_sel_hi:[1,0,1] neg_lo:[0,0,1] neg_hi:[0,0,1]
	v_accvgpr_read_b32 v12, a48
	v_pk_add_f32 v[106:107], v[90:91], v[106:107] neg_lo:[0,1] neg_hi:[0,1]
	;; [unrolled: 4-line block ×5, first 2 shown]
	ds_write_b128 v12, v[126:129]
	v_pk_fma_f32 v[100:101], v[86:87], 2.0, v[102:103] op_sel_hi:[1,0,1] neg_lo:[0,0,1] neg_hi:[0,0,1]
	v_accvgpr_read_b32 v12, a60
	v_pk_fma_f32 v[132:133], v[88:89], 2.0, v[134:135] op_sel_hi:[1,0,1] neg_lo:[0,0,1] neg_hi:[0,0,1]
	v_pk_add_f32 v[138:139], v[84:85], v[80:81] neg_lo:[0,1] neg_hi:[0,1]
	v_pk_add_f32 v[80:81], v[120:121], v[118:119] neg_lo:[0,1] neg_hi:[0,1]
	ds_write_b128 v12, v[100:103]
	ds_write_b128 v41, v[132:135]
	v_pk_fma_f32 v[134:135], v[82:83], 2.0, v[136:137] op_sel_hi:[1,0,1] neg_lo:[0,0,1] neg_hi:[0,0,1]
	v_pk_fma_f32 v[78:79], v[120:121], 2.0, v[80:81] op_sel_hi:[1,0,1] neg_lo:[0,0,1] neg_hi:[0,0,1]
	ds_write_b128 v40, v[134:137]
	v_pk_fma_f32 v[136:137], v[84:85], 2.0, v[138:139] op_sel_hi:[1,0,1] neg_lo:[0,0,1] neg_hi:[0,0,1]
	ds_write_b128 v37, v[136:139]
	s_and_saveexec_b64 s[0:1], s[6:7]
	s_cbranch_execz .LBB0_21
; %bb.20:
	v_accvgpr_read_b32 v12, a58
	ds_write_b128 v12, v[78:81]
.LBB0_21:
	s_or_b64 exec, exec, s[0:1]
	v_accvgpr_read_b32 v12, a92
	v_accvgpr_read_b32 v13, a93
	v_mov_b32_e32 v50, v12
	v_add_u32_e32 v12, 0x800, v122
	v_add_u32_e32 v13, 0x1000, v122
	s_waitcnt lgkmcnt(0)
	; wave barrier
	s_waitcnt lgkmcnt(0)
	ds_read2_b64 v[114:117], v122 offset1:44
	ds_read2_b64 v[118:121], v12 offset0:206 offset1:250
	ds_read2_b64 v[106:109], v122 offset0:88 offset1:132
	;; [unrolled: 1-line block ×6, first 2 shown]
	v_add_u32_e32 v13, 0x1400, v122
	ds_read2_b64 v[94:97], v13 offset0:86 offset1:130
	ds_read2_b64 v[82:85], v12 offset0:96 offset1:140
	v_add_u32_e32 v12, 0x1800, v122
	ds_read2_b64 v[86:89], v12 offset0:46 offset1:90
	v_accvgpr_read_b32 v14, a94
	v_accvgpr_read_b32 v15, a95
	v_mov_b32_e32 v42, v15
	v_mov_b32_e32 v52, v14
	v_mov_b32_e32 v128, v170
	v_mov_b32_e32 v129, v170
	v_mov_b32_e32 v132, v171
	v_mov_b32_e32 v133, v171
	s_and_saveexec_b64 s[0:1], s[6:7]
	s_cbranch_execz .LBB0_23
; %bb.22:
	ds_read_b64 v[78:79], v122 offset:3520
	ds_read_b64 v[80:81], v122 offset:7216
.LBB0_23:
	s_or_b64 exec, exec, s[0:1]
	s_waitcnt lgkmcnt(0)
	v_pk_mul_f32 v[12:13], v[170:171], v[80:81] op_sel:[0,1]
	v_accvgpr_read_b32 v24, a7
	v_pk_fma_f32 v[14:15], v[170:171], v[80:81], v[12:13] op_sel:[0,0,1] op_sel_hi:[1,1,0]
	v_pk_fma_f32 v[12:13], v[170:171], v[80:81], v[12:13] op_sel:[0,0,1] op_sel_hi:[1,0,0] neg_lo:[1,0,0] neg_hi:[1,0,0]
	s_nop 0
	v_mov_b32_e32 v15, v13
	v_pk_mul_f32 v[12:13], v[132:133], v[118:119]
	v_pk_add_f32 v[170:171], v[78:79], v[14:15] neg_lo:[0,1] neg_hi:[0,1]
	v_pk_fma_f32 v[14:15], v[128:129], v[118:119], v[12:13] op_sel:[0,0,1] op_sel_hi:[1,1,0]
	v_pk_fma_f32 v[12:13], v[128:129], v[118:119], v[12:13] op_sel:[0,0,1] op_sel_hi:[1,1,0] neg_lo:[0,0,1] neg_hi:[0,0,1]
	; wave barrier
	s_nop 0
	v_mov_b32_e32 v15, v13
	v_pk_add_f32 v[12:13], v[114:115], v[14:15] neg_lo:[0,1] neg_hi:[0,1]
	v_accvgpr_mov_b32 a91, a90
	v_pk_fma_f32 v[14:15], v[114:115], 2.0, v[12:13] op_sel_hi:[1,0,1] neg_lo:[0,0,1] neg_hi:[0,0,1]
	ds_write2_b64 v24, v[14:15], v[12:13] offset1:2
	v_pk_mul_f32 v[12:13], v[132:133], v[120:121]
	v_accvgpr_read_b32 v24, a21
	v_pk_fma_f32 v[14:15], v[128:129], v[120:121], v[12:13] op_sel:[0,0,1] op_sel_hi:[1,1,0]
	v_pk_fma_f32 v[12:13], v[128:129], v[120:121], v[12:13] op_sel:[0,0,1] op_sel_hi:[1,1,0] neg_lo:[0,0,1] neg_hi:[0,0,1]
	v_accvgpr_read_b32 v135, a91
	v_mov_b32_e32 v15, v13
	v_pk_add_f32 v[12:13], v[116:117], v[14:15] neg_lo:[0,1] neg_hi:[0,1]
	v_mov_b32_e32 v126, v20
	v_pk_fma_f32 v[14:15], v[116:117], 2.0, v[12:13] op_sel_hi:[1,0,1] neg_lo:[0,0,1] neg_hi:[0,0,1]
	ds_write2_b64 v24, v[14:15], v[12:13] offset1:2
	v_pk_mul_f32 v[12:13], v[132:133], v[110:111]
	v_accvgpr_read_b32 v24, a51
	v_pk_fma_f32 v[14:15], v[128:129], v[110:111], v[12:13] op_sel:[0,0,1] op_sel_hi:[1,1,0]
	v_pk_fma_f32 v[12:13], v[128:129], v[110:111], v[12:13] op_sel:[0,0,1] op_sel_hi:[1,1,0] neg_lo:[0,0,1] neg_hi:[0,0,1]
	v_mov_b32_e32 v127, v20
	v_mov_b32_e32 v15, v13
	v_pk_add_f32 v[12:13], v[106:107], v[14:15] neg_lo:[0,1] neg_hi:[0,1]
	v_mov_b32_e32 v20, v21
	v_pk_fma_f32 v[14:15], v[106:107], 2.0, v[12:13] op_sel_hi:[1,0,1] neg_lo:[0,0,1] neg_hi:[0,0,1]
	ds_write2_b64 v24, v[14:15], v[12:13] offset1:2
	v_pk_mul_f32 v[12:13], v[132:133], v[112:113]
	v_accvgpr_read_b32 v24, a57
	v_pk_fma_f32 v[14:15], v[128:129], v[112:113], v[12:13] op_sel:[0,0,1] op_sel_hi:[1,1,0]
	v_pk_fma_f32 v[12:13], v[128:129], v[112:113], v[12:13] op_sel:[0,0,1] op_sel_hi:[1,1,0] neg_lo:[0,0,1] neg_hi:[0,0,1]
	v_mov_b32_e32 v124, v22
	;; [unrolled: 10-line block ×3, first 2 shown]
	v_mov_b32_e32 v15, v13
	v_pk_add_f32 v[12:13], v[98:99], v[14:15] neg_lo:[0,1] neg_hi:[0,1]
	v_mov_b32_e32 v45, v44
	v_pk_fma_f32 v[14:15], v[98:99], 2.0, v[12:13] op_sel_hi:[1,0,1] neg_lo:[0,0,1] neg_hi:[0,0,1]
	ds_write2_b64 v24, v[14:15], v[12:13] offset1:2
	v_pk_mul_f32 v[12:13], v[132:133], v[104:105]
	v_accvgpr_read_b32 v24, a61
	v_pk_fma_f32 v[14:15], v[128:129], v[104:105], v[12:13] op_sel:[0,0,1] op_sel_hi:[1,1,0]
	v_pk_fma_f32 v[12:13], v[128:129], v[104:105], v[12:13] op_sel:[0,0,1] op_sel_hi:[1,1,0] neg_lo:[0,0,1] neg_hi:[0,0,1]
	v_accvgpr_read_b32 v134, a90
	v_mov_b32_e32 v15, v13
	v_pk_add_f32 v[12:13], v[100:101], v[14:15] neg_lo:[0,1] neg_hi:[0,1]
	v_mov_b32_e32 v40, v54
	v_pk_fma_f32 v[14:15], v[100:101], 2.0, v[12:13] op_sel_hi:[1,0,1] neg_lo:[0,0,1] neg_hi:[0,0,1]
	ds_write2_b64 v24, v[14:15], v[12:13] offset1:2
	v_pk_mul_f32 v[12:13], v[132:133], v[94:95]
	v_accvgpr_read_b32 v24, a66
	v_pk_fma_f32 v[14:15], v[128:129], v[94:95], v[12:13] op_sel:[0,0,1] op_sel_hi:[1,1,0]
	v_pk_fma_f32 v[12:13], v[128:129], v[94:95], v[12:13] op_sel:[0,0,1] op_sel_hi:[1,1,0] neg_lo:[0,0,1] neg_hi:[0,0,1]
	v_mov_b32_e32 v41, v54
	v_mov_b32_e32 v15, v13
	v_pk_add_f32 v[12:13], v[90:91], v[14:15] neg_lo:[0,1] neg_hi:[0,1]
	v_mov_b32_e32 v54, v55
	v_pk_fma_f32 v[14:15], v[90:91], 2.0, v[12:13] op_sel_hi:[1,0,1] neg_lo:[0,0,1] neg_hi:[0,0,1]
	ds_write2_b64 v24, v[14:15], v[12:13] offset1:2
	v_pk_mul_f32 v[12:13], v[132:133], v[96:97]
	v_accvgpr_read_b32 v24, a67
	v_pk_fma_f32 v[14:15], v[128:129], v[96:97], v[12:13] op_sel:[0,0,1] op_sel_hi:[1,1,0]
	v_pk_fma_f32 v[12:13], v[128:129], v[96:97], v[12:13] op_sel:[0,0,1] op_sel_hi:[1,1,0] neg_lo:[0,0,1] neg_hi:[0,0,1]
	s_nop 0
	v_mov_b32_e32 v15, v13
	v_pk_add_f32 v[12:13], v[92:93], v[14:15] neg_lo:[0,1] neg_hi:[0,1]
	s_nop 0
	v_pk_fma_f32 v[14:15], v[92:93], 2.0, v[12:13] op_sel_hi:[1,0,1] neg_lo:[0,0,1] neg_hi:[0,0,1]
	ds_write2_b64 v24, v[14:15], v[12:13] offset1:2
	v_pk_mul_f32 v[12:13], v[132:133], v[86:87]
	v_accvgpr_read_b32 v24, a82
	v_pk_fma_f32 v[14:15], v[128:129], v[86:87], v[12:13] op_sel:[0,0,1] op_sel_hi:[1,1,0]
	v_pk_fma_f32 v[12:13], v[128:129], v[86:87], v[12:13] op_sel:[0,0,1] op_sel_hi:[1,1,0] neg_lo:[0,0,1] neg_hi:[0,0,1]
	s_nop 0
	v_mov_b32_e32 v15, v13
	v_pk_add_f32 v[12:13], v[82:83], v[14:15] neg_lo:[0,1] neg_hi:[0,1]
	s_nop 0
	;; [unrolled: 10-line block ×3, first 2 shown]
	v_pk_fma_f32 v[14:15], v[84:85], 2.0, v[12:13] op_sel_hi:[1,0,1] neg_lo:[0,0,1] neg_hi:[0,0,1]
	ds_write2_b64 v24, v[14:15], v[12:13] offset1:2
	s_and_saveexec_b64 s[0:1], s[6:7]
	s_cbranch_execz .LBB0_25
; %bb.24:
	s_movk_i32 s14, 0x3fc
	v_accvgpr_read_b32 v12, a84
	v_and_or_b32 v12, v12, s14, v123
	v_lshlrev_b32_e32 v14, 3, v12
	v_pk_fma_f32 v[12:13], v[78:79], 2.0, v[170:171] op_sel_hi:[1,0,1] neg_lo:[0,0,1] neg_hi:[0,0,1]
	ds_write2_b64 v14, v[12:13], v[170:171] offset1:2
.LBB0_25:
	s_or_b64 exec, exec, s[0:1]
	v_add_u32_e32 v98, 0x1000, v122
	s_waitcnt lgkmcnt(0)
	; wave barrier
	s_waitcnt lgkmcnt(0)
	ds_read2_b64 v[78:81], v98 offset0:16 offset1:60
	v_add_u32_e32 v99, 0x800, v122
	ds_read2_b64 v[82:85], v99 offset0:8 offset1:52
	ds_read_b64 v[12:13], v122 offset:7040
	v_add_u32_e32 v37, 0x1800, v122
	ds_read2_b64 v[90:93], v37 offset0:24 offset1:68
	s_waitcnt lgkmcnt(3)
	v_pk_mul_f32 v[14:15], v[20:21], v[80:81]
	ds_read2_b64 v[86:89], v122 offset0:176 offset1:220
	v_pk_fma_f32 v[24:25], v[126:127], v[80:81], v[14:15] op_sel:[0,0,1] op_sel_hi:[1,1,0]
	v_pk_fma_f32 v[14:15], v[126:127], v[80:81], v[14:15] op_sel:[0,0,1] op_sel_hi:[1,1,0] neg_lo:[0,0,1] neg_hi:[0,0,1]
	s_mov_b32 s0, 0x3f5db3d7
	v_mov_b32_e32 v25, v15
	s_waitcnt lgkmcnt(2)
	v_pk_mul_f32 v[14:15], v[22:23], v[12:13]
	s_mov_b32 s14, 0x3f08b237
	v_pk_fma_f32 v[26:27], v[124:125], v[12:13], v[14:15] op_sel:[0,0,1] op_sel_hi:[1,1,0]
	v_pk_fma_f32 v[12:13], v[124:125], v[12:13], v[14:15] op_sel:[0,0,1] op_sel_hi:[1,1,0] neg_lo:[0,0,1] neg_hi:[0,0,1]
	v_pk_mul_f32 v[14:15], v[20:21], v[78:79]
	v_mov_b32_e32 v27, v13
	v_pk_fma_f32 v[104:105], v[126:127], v[78:79], v[14:15] op_sel:[0,0,1] op_sel_hi:[1,1,0]
	v_pk_fma_f32 v[14:15], v[126:127], v[78:79], v[14:15] op_sel:[0,0,1] op_sel_hi:[1,1,0] neg_lo:[0,0,1] neg_hi:[0,0,1]
	ds_read2_b64 v[78:81], v99 offset0:184 offset1:228
	v_mov_b32_e32 v105, v15
	s_waitcnt lgkmcnt(2)
	v_pk_mul_f32 v[14:15], v[22:23], v[92:93]
	v_pk_add_f32 v[12:13], v[82:83], v[24:25]
	v_pk_fma_f32 v[106:107], v[124:125], v[92:93], v[14:15] op_sel:[0,0,1] op_sel_hi:[1,1,0]
	v_pk_fma_f32 v[14:15], v[124:125], v[92:93], v[14:15] op_sel:[0,0,1] op_sel_hi:[1,1,0] neg_lo:[0,0,1] neg_hi:[0,0,1]
	s_waitcnt lgkmcnt(0)
	v_pk_mul_f32 v[92:93], v[20:21], v[80:81]
	v_mov_b32_e32 v107, v15
	v_pk_fma_f32 v[108:109], v[126:127], v[80:81], v[92:93] op_sel:[0,0,1] op_sel_hi:[1,1,0]
	v_pk_fma_f32 v[80:81], v[126:127], v[80:81], v[92:93] op_sel:[0,0,1] op_sel_hi:[1,1,0] neg_lo:[0,0,1] neg_hi:[0,0,1]
	v_pk_add_f32 v[14:15], v[88:89], v[104:105]
	v_mov_b32_e32 v109, v81
	v_pk_mul_f32 v[80:81], v[22:23], v[90:91]
	v_pk_add_f32 v[14:15], v[14:15], v[106:107]
	v_pk_fma_f32 v[110:111], v[124:125], v[90:91], v[80:81] op_sel:[0,0,1] op_sel_hi:[1,1,0]
	v_pk_fma_f32 v[80:81], v[124:125], v[90:91], v[80:81] op_sel:[0,0,1] op_sel_hi:[1,1,0] neg_lo:[0,0,1] neg_hi:[0,0,1]
	ds_read2_b64 v[90:93], v122 offset0:88 offset1:132
	ds_read2_b64 v[94:97], v98 offset0:192 offset1:236
	v_mov_b32_e32 v111, v81
	v_pk_add_f32 v[80:81], v[86:87], v[108:109]
	v_pk_add_f32 v[12:13], v[12:13], v[26:27]
	v_pk_add_f32 v[112:113], v[80:81], v[110:111]
	v_pk_mul_f32 v[80:81], v[20:21], v[78:79]
	s_waitcnt lgkmcnt(0)
	v_pk_mul_f32 v[100:101], v[22:23], v[96:97]
	v_pk_fma_f32 v[114:115], v[126:127], v[78:79], v[80:81] op_sel:[0,0,1] op_sel_hi:[1,1,0]
	v_pk_fma_f32 v[78:79], v[126:127], v[78:79], v[80:81] op_sel:[0,0,1] op_sel_hi:[1,1,0] neg_lo:[0,0,1] neg_hi:[0,0,1]
	v_pk_fma_f32 v[116:117], v[124:125], v[96:97], v[100:101] op_sel:[0,0,1] op_sel_hi:[1,1,0]
	v_mov_b32_e32 v115, v79
	ds_read2_b64 v[78:81], v99 offset0:96 offset1:140
	v_pk_fma_f32 v[96:97], v[124:125], v[96:97], v[100:101] op_sel:[0,0,1] op_sel_hi:[1,1,0] neg_lo:[0,0,1] neg_hi:[0,0,1]
	s_mov_b32 s16, 0xbeae86e6
	v_mov_b32_e32 v117, v97
	v_pk_add_f32 v[96:97], v[92:93], v[114:115]
	s_waitcnt lgkmcnt(0)
	v_pk_mul_f32 v[130:131], v[20:21], v[78:79]
	v_pk_add_f32 v[118:119], v[96:97], v[116:117]
	v_pk_mul_f32 v[96:97], v[20:21], v[80:81]
	v_pk_fma_f32 v[132:133], v[126:127], v[78:79], v[130:131] op_sel:[0,0,1] op_sel_hi:[1,1,0]
	v_pk_fma_f32 v[120:121], v[126:127], v[80:81], v[96:97] op_sel:[0,0,1] op_sel_hi:[1,1,0]
	v_pk_fma_f32 v[80:81], v[126:127], v[80:81], v[96:97] op_sel:[0,0,1] op_sel_hi:[1,1,0] neg_lo:[0,0,1] neg_hi:[0,0,1]
	v_pk_fma_f32 v[78:79], v[126:127], v[78:79], v[130:131] op_sel:[0,0,1] op_sel_hi:[1,1,0] neg_lo:[0,0,1] neg_hi:[0,0,1]
	v_mov_b32_e32 v121, v81
	v_pk_mul_f32 v[80:81], v[22:23], v[94:95]
	v_mov_b32_e32 v133, v79
	v_pk_fma_f32 v[128:129], v[124:125], v[94:95], v[80:81] op_sel:[0,0,1] op_sel_hi:[1,1,0]
	v_pk_fma_f32 v[80:81], v[124:125], v[94:95], v[80:81] op_sel:[0,0,1] op_sel_hi:[1,1,0] neg_lo:[0,0,1] neg_hi:[0,0,1]
	ds_read2_b64 v[94:97], v122 offset1:44
	ds_read2_b64 v[100:103], v98 offset0:104 offset1:148
	v_pk_mul_f32 v[20:21], v[20:21], v[84:85]
	s_waitcnt lgkmcnt(0)
	; wave barrier
	s_waitcnt lgkmcnt(0)
	v_mov_b32_e32 v129, v81
	v_pk_mul_f32 v[78:79], v[22:23], v[102:103]
	v_pk_add_f32 v[80:81], v[90:91], v[120:121]
	v_pk_fma_f32 v[130:131], v[124:125], v[102:103], v[78:79] op_sel:[0,0,1] op_sel_hi:[1,1,0]
	v_pk_fma_f32 v[78:79], v[124:125], v[102:103], v[78:79] op_sel:[0,0,1] op_sel_hi:[1,1,0] neg_lo:[0,0,1] neg_hi:[0,0,1]
	v_pk_fma_f32 v[102:103], v[126:127], v[84:85], v[20:21] op_sel:[0,0,1] op_sel_hi:[1,1,0]
	v_pk_fma_f32 v[20:21], v[126:127], v[84:85], v[20:21] op_sel:[0,0,1] op_sel_hi:[1,1,0] neg_lo:[0,0,1] neg_hi:[0,0,1]
	v_mov_b32_e32 v131, v79
	v_mov_b32_e32 v103, v21
	v_pk_mul_f32 v[20:21], v[22:23], v[100:101]
	v_pk_add_f32 v[78:79], v[96:97], v[132:133]
	v_pk_fma_f32 v[22:23], v[124:125], v[100:101], v[20:21] op_sel:[0,0,1] op_sel_hi:[1,1,0]
	v_pk_fma_f32 v[20:21], v[124:125], v[100:101], v[20:21] op_sel:[0,0,1] op_sel_hi:[1,1,0] neg_lo:[0,0,1] neg_hi:[0,0,1]
	v_pk_add_f32 v[78:79], v[78:79], v[130:131]
	v_mov_b32_e32 v23, v21
	v_pk_add_f32 v[20:21], v[94:95], v[102:103]
	v_pk_add_f32 v[84:85], v[102:103], v[22:23]
	;; [unrolled: 1-line block ×3, first 2 shown]
	v_pk_add_f32 v[22:23], v[102:103], v[22:23] neg_lo:[0,1] neg_hi:[0,1]
	v_pk_fma_f32 v[84:85], v[84:85], 0.5, v[94:95] op_sel_hi:[1,0,1] neg_lo:[1,0,0] neg_hi:[1,0,0]
	v_pk_mul_f32 v[22:23], v[22:23], s[0:1] op_sel_hi:[1,0]
	v_pk_add_f32 v[80:81], v[80:81], v[128:129]
	v_pk_add_f32 v[94:95], v[84:85], v[22:23] op_sel:[0,1] op_sel_hi:[1,0] neg_lo:[0,1] neg_hi:[0,1]
	v_pk_add_f32 v[22:23], v[84:85], v[22:23] op_sel:[0,1] op_sel_hi:[1,0]
	v_mov_b32_e32 v84, v94
	v_mov_b32_e32 v85, v23
	v_accvgpr_read_b32 v94, a79
	v_mov_b32_e32 v23, v95
	ds_write2_b64 v94, v[20:21], v[84:85] offset1:4
	ds_write_b64 v94, v[22:23] offset:64
	v_pk_add_f32 v[20:21], v[132:133], v[130:131]
	v_pk_add_f32 v[22:23], v[132:133], v[130:131] neg_lo:[0,1] neg_hi:[0,1]
	v_pk_fma_f32 v[20:21], v[20:21], 0.5, v[96:97] op_sel_hi:[1,0,1] neg_lo:[1,0,0] neg_hi:[1,0,0]
	v_pk_mul_f32 v[22:23], v[22:23], s[0:1] op_sel_hi:[1,0]
	s_mov_b32 s15, 0x3d64c772
	v_pk_add_f32 v[84:85], v[20:21], v[22:23] op_sel:[0,1] op_sel_hi:[1,0] neg_lo:[0,1] neg_hi:[0,1]
	v_pk_add_f32 v[20:21], v[20:21], v[22:23] op_sel:[0,1] op_sel_hi:[1,0]
	v_mov_b32_e32 v22, v84
	v_mov_b32_e32 v23, v21
	v_accvgpr_read_b32 v84, a76
	v_mov_b32_e32 v21, v85
	ds_write2_b64 v84, v[78:79], v[22:23] offset1:4
	ds_write_b64 v84, v[20:21] offset:64
	v_pk_add_f32 v[20:21], v[120:121], v[128:129]
	v_pk_add_f32 v[22:23], v[120:121], v[128:129] neg_lo:[0,1] neg_hi:[0,1]
	v_pk_fma_f32 v[20:21], v[20:21], 0.5, v[90:91] op_sel_hi:[1,0,1] neg_lo:[1,0,0] neg_hi:[1,0,0]
	v_pk_mul_f32 v[22:23], v[22:23], s[0:1] op_sel_hi:[1,0]
	s_mov_b32 s17, 0x3f4a47b2
	;; [unrolled: 13-line block ×6, first 2 shown]
	v_pk_add_f32 v[22:23], v[14:15], v[20:21] op_sel:[0,1] op_sel_hi:[1,0] neg_lo:[0,1] neg_hi:[0,1]
	v_pk_add_f32 v[14:15], v[14:15], v[20:21] op_sel:[0,1] op_sel_hi:[1,0]
	v_mov_b32_e32 v20, v22
	v_mov_b32_e32 v21, v15
	v_accvgpr_read_b32 v22, a68
	v_mov_b32_e32 v15, v23
	ds_write2_b64 v22, v[12:13], v[20:21] offset1:4
	ds_write_b64 v22, v[14:15] offset:64
	s_waitcnt lgkmcnt(0)
	; wave barrier
	s_waitcnt lgkmcnt(0)
	ds_read2_b64 v[86:89], v122 offset0:88 offset1:132
	ds_read2_b64 v[82:85], v99 offset0:8 offset1:52
	;; [unrolled: 1-line block ×8, first 2 shown]
	ds_read_b64 v[12:13], v122 offset:7040
	ds_read2_b64 v[116:119], v98 offset0:16 offset1:60
	v_mov_b32_e32 v14, v47
	s_waitcnt lgkmcnt(5)
	v_pk_mul_f32 v[92:93], v[14:15], v[102:103] op_sel:[0,1] op_sel_hi:[1,0]
	v_pk_mul_f32 v[14:15], v[46:47], v[102:103] op_sel:[0,1] op_sel_hi:[1,0]
	v_pk_mul_f32 v[90:91], v[46:47], v[102:103]
	v_mov_b32_e32 v14, v15
	v_pk_fma_f32 v[46:47], v[46:47], v[102:103], v[14:15] op_sel:[0,1,0] op_sel_hi:[1,0,1] neg_lo:[0,0,1] neg_hi:[0,0,1]
	v_mov_b32_e32 v14, v49
	s_waitcnt lgkmcnt(0)
	v_pk_mul_f32 v[96:97], v[14:15], v[116:117] op_sel:[0,1] op_sel_hi:[1,0]
	v_pk_mul_f32 v[14:15], v[48:49], v[116:117] op_sel:[0,1] op_sel_hi:[1,0]
	v_pk_mul_f32 v[94:95], v[48:49], v[116:117]
	v_mov_b32_e32 v14, v15
	v_pk_fma_f32 v[48:49], v[48:49], v[116:117], v[14:15] op_sel:[0,1,0] op_sel_hi:[1,0,1] neg_lo:[0,0,1] neg_hi:[0,0,1]
	v_pk_mul_f32 v[14:15], v[42:43], v[104:105]
	v_pk_mul_f32 v[26:27], v[52:53], v[118:119]
	v_mov_b32_e32 v117, v14
	v_mov_b32_e32 v116, v26
	;; [unrolled: 1-line block ×3, first 2 shown]
	v_pk_add_f32 v[14:15], v[116:117], v[14:15]
	v_mov_b32_e32 v116, v119
	v_mov_b32_e32 v42, v53
	;; [unrolled: 1-line block ×3, first 2 shown]
	v_accvgpr_read_b32 v52, a94
	v_mov_b32_e32 v117, v105
	v_pk_mul_f32 v[42:43], v[42:43], v[118:119]
	v_accvgpr_read_b32 v53, a95
	v_pk_mul_f32 v[24:25], v[50:51], v[108:109]
	v_pk_mul_f32 v[102:103], v[56:57], v[22:23]
	v_pk_fma_f32 v[42:43], v[52:53], v[116:117], v[42:43] neg_lo:[0,0,1] neg_hi:[0,0,1]
	v_mov_b32_e32 v52, v109
	v_mov_b32_e32 v56, v51
	;; [unrolled: 1-line block ×3, first 2 shown]
	v_accvgpr_read_b32 v50, a92
	v_mov_b32_e32 v53, v23
	v_pk_mul_f32 v[22:23], v[56:57], v[108:109]
	v_accvgpr_read_b32 v51, a93
	v_pk_fma_f32 v[22:23], v[50:51], v[52:53], v[22:23] neg_lo:[0,0,1] neg_hi:[0,0,1]
	v_mov_b32_e32 v26, v24
	v_pk_add_f32 v[50:51], v[42:43], v[22:23]
	v_pk_add_f32 v[22:23], v[42:43], v[22:23] neg_lo:[0,1] neg_hi:[0,1]
	v_pk_mul_f32 v[42:43], v[134:135], v[84:85]
	v_mov_b32_e32 v27, v102
	v_pk_fma_f32 v[52:53], v[44:45], v[84:85], v[42:43] op_sel:[0,0,1] op_sel_hi:[1,1,0]
	v_pk_fma_f32 v[42:43], v[44:45], v[84:85], v[42:43] op_sel:[0,0,1] op_sel_hi:[1,1,0] neg_lo:[0,0,1] neg_hi:[0,0,1]
	v_mov_b32_e32 v102, v25
	v_mov_b32_e32 v53, v43
	v_pk_mul_f32 v[42:43], v[54:55], v[112:113]
	v_pk_add_f32 v[24:25], v[26:27], v[102:103]
	v_pk_fma_f32 v[44:45], v[40:41], v[112:113], v[42:43] op_sel:[0,0,1] op_sel_hi:[1,1,0]
	v_pk_fma_f32 v[40:41], v[40:41], v[112:113], v[42:43] op_sel:[0,0,1] op_sel_hi:[1,1,0] neg_lo:[0,0,1] neg_hi:[0,0,1]
	v_pk_add_f32 v[26:27], v[24:25], v[14:15]
	v_mov_b32_e32 v45, v41
	v_pk_add_f32 v[102:103], v[14:15], v[24:25] neg_lo:[0,1] neg_hi:[0,1]
	v_mov_b32_e32 v14, v52
	v_mov_b32_e32 v24, v44
	v_pk_add_f32 v[42:43], v[52:53], v[44:45] neg_lo:[0,1] neg_hi:[0,1]
	v_pk_add_f32 v[14:15], v[14:15], v[24:25]
	v_pk_add_f32 v[44:45], v[52:53], v[44:45]
	v_add_f32_e32 v25, v102, v42
	v_mov_b32_e32 v53, v45
	v_add_f32_e32 v25, v25, v103
	v_pk_add_f32 v[44:45], v[44:45], v[50:51]
	v_mov_b32_e32 v24, v15
	v_mul_f32_e32 v40, 0xbee1c552, v25
	v_mov_b32_e32 v25, v14
	v_mov_b32_e32 v44, v43
	;; [unrolled: 1-line block ×4, first 2 shown]
	v_pk_add_f32 v[102:103], v[24:25], v[14:15]
	v_pk_add_f32 v[104:105], v[22:23], v[44:45]
	v_mov_b32_e32 v108, v43
	v_mov_b32_e32 v109, v22
	;; [unrolled: 1-line block ×5, first 2 shown]
	v_pk_add_f32 v[108:109], v[22:23], v[108:109] neg_lo:[0,1] neg_hi:[0,1]
	v_pk_add_f32 v[24:25], v[24:25], v[26:27] neg_lo:[0,1] neg_hi:[0,1]
	v_pk_add_f32 v[102:103], v[102:103], v[26:27] op_sel_hi:[1,0]
	v_pk_add_f32 v[112:113], v[50:51], v[44:45]
	v_mov_b32_e32 v27, v14
	v_pk_add_f32 v[50:51], v[104:105], v[22:23] op_sel:[0,1]
	v_pk_add_f32 v[22:23], v[42:43], v[22:23] neg_lo:[0,1] neg_hi:[0,1]
	s_mov_b32 s1, 0xbf5ff5aa
	v_pk_add_f32 v[14:15], v[26:27], v[14:15] neg_lo:[0,1] neg_hi:[0,1]
	s_mov_b32 s18, s15
	v_pk_mul_f32 v[44:45], v[108:109], s[20:21]
	v_mov_b32_e32 v51, v23
	v_pk_mul_f32 v[26:27], v[14:15], s[18:19]
	v_pk_mul_f32 v[22:23], v[50:51], s[0:1]
	v_mov_b32_e32 v44, v45
	v_mov_b32_e32 v52, v42
	;; [unrolled: 1-line block ×3, first 2 shown]
	s_mov_b32 s24, 0xbf4a47b2
	v_pk_fma_f32 v[116:117], v[108:109], s[20:21], v[44:45]
	v_pk_fma_f32 v[44:45], v[108:109], s[20:21], v[22:23] neg_lo:[1,0,1] neg_hi:[1,0,1]
	v_pk_add_f32 v[56:57], v[54:55], v[52:53] neg_lo:[0,1] neg_hi:[0,1]
	v_pk_add_f32 v[54:55], v[84:85], v[54:55] neg_lo:[0,1] neg_hi:[0,1]
	v_pk_fma_f32 v[14:15], v[14:15], s[18:19], v[42:43] neg_lo:[1,0,0] neg_hi:[1,0,0]
	v_fma_f32 v113, v24, s24, -v27
	v_mov_b32_e32 v42, v23
	v_mov_b32_e32 v117, v45
	v_pk_add_f32 v[44:45], v[52:53], v[84:85] neg_lo:[0,1] neg_hi:[0,1]
	s_mov_b32 s24, s1
	s_mov_b32 s25, s19
	v_pk_mul_f32 v[54:55], v[54:55], s[16:17]
	v_pk_fma_f32 v[42:43], v[108:109], s[20:21], v[42:43] neg_lo:[1,0,0] neg_hi:[1,0,0]
	v_pk_mul_f32 v[44:45], v[44:45], s[24:25]
	v_pk_fma_f32 v[104:105], v[56:57], s[14:15], v[54:55]
	v_pk_fma_f32 v[108:109], v[56:57], s[14:15], v[44:45] neg_lo:[1,0,0] neg_hi:[1,0,0]
	v_mov_b32_e32 v52, v44
	v_mov_b32_e32 v53, v55
	;; [unrolled: 1-line block ×3, first 2 shown]
	v_pk_fma_f32 v[44:45], v[50:51], s[0:1], v[42:43]
	v_pk_add_f32 v[50:51], v[22:23], v[116:117] op_sel_hi:[0,1]
	v_accvgpr_read_b32 v42, a98
	v_accvgpr_read_b32 v117, a81
	;; [unrolled: 1-line block ×3, first 2 shown]
	v_mov_b32_e32 v22, v111
	v_mov_b32_e32 v111, v100
	v_accvgpr_read_b32 v43, a99
	v_accvgpr_read_b32 v116, a80
	;; [unrolled: 1-line block ×3, first 2 shown]
	v_pk_add_f32 v[118:119], v[52:53], v[54:55] neg_lo:[1,1] neg_hi:[1,1]
	v_mov_b32_e32 v23, v101
	v_pk_mul_f32 v[42:43], v[42:43], v[110:111]
	v_mov_b32_e32 v52, v79
	v_mov_b32_e32 v53, v107
	;; [unrolled: 1-line block ×5, first 2 shown]
	v_pk_fma_f32 v[38:39], v[38:39], v[22:23], v[42:43] neg_lo:[0,0,1] neg_hi:[0,0,1]
	v_mov_b32_e32 v42, v78
	v_mov_b32_e32 v43, v106
	v_pk_mul_f32 v[34:35], v[34:35], v[52:53]
	v_pk_mul_f32 v[54:55], v[54:55], v[78:79]
	v_accvgpr_read_b32 v37, a86
	v_mov_b32_e32 v78, v101
	v_mov_b32_e32 v79, v106
	v_pk_fma_f32 v[34:35], v[174:175], v[42:43], v[34:35]
	v_mov_b32_e32 v42, v174
	v_mov_b32_e32 v23, v13
	v_accvgpr_read_b32 v174, a87
	v_mov_b32_e32 v56, v100
	v_mov_b32_e32 v57, v107
	v_pk_mul_f32 v[36:37], v[36:37], v[78:79]
	v_mov_b32_e32 v43, v117
	v_mov_b32_e32 v53, v115
	v_pk_mul_f32 v[22:23], v[32:33], v[22:23]
	v_pk_fma_f32 v[78:79], v[174:175], v[56:57], v[36:37] neg_lo:[0,0,1] neg_hi:[0,0,1]
	v_pk_fma_f32 v[36:37], v[174:175], v[56:57], v[36:37]
	v_mov_b32_e32 v56, v115
	v_mov_b32_e32 v32, v117
	;; [unrolled: 1-line block ×3, first 2 shown]
	v_pk_fma_f32 v[42:43], v[42:43], v[52:53], v[54:55] neg_lo:[0,0,1] neg_hi:[0,0,1]
	v_mov_b32_e32 v111, v12
	v_accvgpr_read_b32 v52, a96
	v_mov_b32_e32 v57, v13
	v_pk_mul_f32 v[12:13], v[32:33], v[114:115]
	v_accvgpr_read_b32 v53, a97
	v_pk_fma_f32 v[32:33], v[84:85], v[56:57], v[12:13] neg_lo:[0,0,1] neg_hi:[0,0,1]
	v_pk_fma_f32 v[12:13], v[84:85], v[56:57], v[12:13]
	v_pk_fma_f32 v[22:23], v[52:53], v[110:111], v[22:23]
	v_mov_b32_e32 v37, v79
	v_mov_b32_e32 v13, v33
	v_pk_add_f32 v[54:55], v[34:35], v[22:23] neg_lo:[0,1] neg_hi:[0,1]
	v_pk_add_f32 v[56:57], v[36:37], v[12:13]
	v_pk_add_f32 v[22:23], v[34:35], v[22:23]
	;; [unrolled: 1-line block ×3, first 2 shown]
	v_mov_b32_e32 v34, v56
	v_mov_b32_e32 v35, v22
	;; [unrolled: 1-line block ×6, first 2 shown]
	v_pk_add_f32 v[34:35], v[22:23], v[34:35] neg_lo:[0,1] neg_hi:[0,1]
	s_mov_b32 s24, s15
	s_mov_b32 s25, s17
	v_mov_b32_e32 v106, v23
	v_mov_b32_e32 v107, v53
	v_pk_add_f32 v[12:13], v[84:85], v[36:37] neg_lo:[0,1] neg_hi:[0,1]
	v_mov_b32_e32 v36, v53
	v_mov_b32_e32 v37, v57
	v_pk_mul_f32 v[100:101], v[34:35], s[24:25]
	v_pk_add_f32 v[106:107], v[106:107], v[56:57]
	v_mov_b32_e32 v110, v23
	v_mov_b32_e32 v111, v52
	v_mov_b32_e32 v23, v52
	v_pk_add_f32 v[36:37], v[52:53], v[36:37] neg_lo:[0,1] neg_hi:[0,1]
	v_mov_b32_e32 v84, v13
	v_mov_b32_e32 v85, v54
	v_pk_add_f32 v[56:57], v[56:57], v[110:111] neg_lo:[0,1] neg_hi:[0,1]
	v_pk_add_f32 v[52:53], v[22:23], v[106:107]
	s_mov_b32 s28, s19
	s_mov_b32 s29, s17
	v_mov_b32_e32 v39, v100
	s_mov_b32 s23, 0x3f955555
	v_pk_add_f32 v[84:85], v[54:55], v[84:85] neg_lo:[0,1] neg_hi:[0,1]
	v_pk_add_f32 v[22:23], v[86:87], v[52:53]
	v_pk_mul_f32 v[86:87], v[56:57], s[28:29]
	v_pk_mul_f32 v[106:107], v[36:37], s[18:19]
	v_pk_fma_f32 v[34:35], v[34:35], s[24:25], v[38:39]
	v_sub_f32_e32 v32, v13, v55
	s_mov_b32 s26, s23
	v_pk_mul_f32 v[110:111], v[84:85], s[20:21]
	v_sub_f32_e64 v34, -v101, v86
	v_xor_b32_e32 v87, 0x80000000, v87
	v_mov_b32_e32 v86, v107
	v_mul_f32_e32 v32, 0xbf5ff5aa, v32
	v_pk_fma_f32 v[52:53], v[52:53], s[26:27], v[22:23] op_sel_hi:[1,0,1] neg_lo:[1,0,0] neg_hi:[1,0,0]
	v_pk_fma_f32 v[36:37], v[36:37], s[18:19], v[86:87] neg_lo:[1,0,0] neg_hi:[1,0,0]
	v_mov_b32_e32 v39, v110
	v_pk_fma_f32 v[114:115], v[56:57], s[28:29], v[106:107] op_sel:[0,0,1] op_sel_hi:[1,1,0]
	v_pk_fma_f32 v[86:87], v[84:85], s[20:21], v[38:39]
	v_pk_fma_f32 v[84:85], v[84:85], s[20:21], v[32:33] op_sel_hi:[1,1,0] neg_lo:[1,0,0] neg_hi:[1,0,1]
	v_pk_add_f32 v[106:107], v[36:37], v[52:53] op_sel:[0,1]
	v_mov_b32_e32 v36, v79
	v_mov_b32_e32 v37, v42
	;; [unrolled: 1-line block ×4, first 2 shown]
	v_pk_add_f32 v[32:33], v[36:37], v[32:33] neg_lo:[0,1] neg_hi:[0,1]
	v_mov_b32_e32 v37, v54
	v_mov_b32_e32 v36, v33
	;; [unrolled: 1-line block ×4, first 2 shown]
	v_pk_fma_f32 v[56:57], v[56:57], s[28:29], v[100:101] neg_lo:[0,0,1] neg_hi:[0,0,1]
	v_pk_add_f32 v[36:37], v[36:37], v[12:13]
	v_pk_add_f32 v[38:39], v[32:33], v[38:39] neg_lo:[0,1] neg_hi:[0,1]
	v_sub_f32_e32 v41, v12, v32
	v_mov_b32_e32 v33, v55
	s_mov_b32 s28, s16
	s_mov_b32 s29, s14
	v_pk_add_f32 v[12:13], v[36:37], v[32:33]
	v_pk_mul_f32 v[36:37], v[38:39], s[28:29]
	v_mul_f32_e32 v42, 0xbf5ff5aa, v41
	v_xor_b32_e32 v42, 0x80000000, v42
	v_mov_b32_e32 v43, v36
	v_mov_b32_e32 v57, v115
	v_pk_mul_f32 v[32:33], v[12:13], s[0:1] op_sel_hi:[1,0]
	v_fma_f32 v86, v41, s1, -v37
	v_pk_fma_f32 v[36:37], v[38:39], s[28:29], v[42:43] neg_lo:[1,0,0] neg_hi:[1,0,0]
	v_pk_fma_f32 v[38:39], v[38:39], s[28:29], v[42:43]
	v_pk_add_f32 v[100:101], v[56:57], v[52:53]
	v_mov_b32_e32 v37, v39
	v_pk_fma_f32 v[12:13], v[12:13], s[0:1], v[86:87] op_sel_hi:[1,0,1]
	v_pk_add_f32 v[38:39], v[32:33], v[84:85] op_sel:[1,0]
	v_pk_add_f32 v[42:43], v[32:33], v[36:37] op_sel_hi:[0,1]
	v_mov_b32_e32 v32, v107
	v_mov_b32_e32 v33, v101
	v_mov_b32_e32 v36, v39
	v_mov_b32_e32 v37, v13
	v_mov_b32_e32 v25, v103
	v_pk_add_f32 v[34:35], v[34:35], v[52:53] op_sel_hi:[1,0]
	v_pk_add_f32 v[36:37], v[32:33], v[36:37] neg_lo:[0,1] neg_hi:[0,1]
	v_mov_b32_e32 v32, v100
	v_mov_b32_e32 v52, v12
	v_pk_add_f32 v[84:85], v[12:13], v[100:101]
	v_mov_b32_e32 v12, v103
	v_mov_b32_e32 v100, v89
	v_pk_mul_f32 v[102:103], v[0:1], v[88:89] op_sel_hi:[1,0]
	v_mov_b32_e32 v33, v34
	v_pk_fma_f32 v[100:101], v[0:1], v[100:101], v[102:103] op_sel:[0,0,1] op_sel_hi:[1,1,0] neg_lo:[0,0,1] neg_hi:[0,0,1]
	v_pk_fma_f32 v[0:1], v[0:1], v[88:89], v[102:103] op_sel:[0,1,1] op_sel_hi:[1,1,0]
	v_pk_mul_f32 v[88:89], v[2:3], v[82:83] op_sel_hi:[1,0]
	v_mov_b32_e32 v0, v83
	v_mov_b32_e32 v101, v1
	v_pk_fma_f32 v[0:1], v[2:3], v[0:1], v[88:89] op_sel:[0,0,1] op_sel_hi:[1,1,0] neg_lo:[0,0,1] neg_hi:[0,0,1]
	v_pk_fma_f32 v[2:3], v[2:3], v[82:83], v[88:89] op_sel:[0,1,1] op_sel_hi:[1,1,0]
	v_pk_mul_f32 v[82:83], v[4:5], v[80:81] op_sel_hi:[1,0]
	v_mov_b32_e32 v2, v81
	;; [unrolled: 5-line block ×3, first 2 shown]
	v_mov_b32_e32 v3, v5
	v_pk_fma_f32 v[4:5], v[6:7], v[4:5], v[80:81] op_sel:[0,0,1] op_sel_hi:[1,1,0] neg_lo:[0,0,1] neg_hi:[0,0,1]
	v_pk_fma_f32 v[6:7], v[6:7], v[20:21], v[80:81] op_sel:[0,1,1] op_sel_hi:[1,1,0]
	v_mov_b32_e32 v53, v42
	v_mov_b32_e32 v5, v7
	;; [unrolled: 1-line block ×6, first 2 shown]
	v_pk_add_f32 v[32:33], v[32:33], v[52:53] neg_lo:[0,1] neg_hi:[0,1]
	ds_read2_b64 v[52:55], v122 offset1:44
	v_pk_add_f32 v[6:7], v[100:101], v[4:5]
	v_pk_add_f32 v[20:21], v[100:101], v[4:5] neg_lo:[0,1] neg_hi:[0,1]
	v_pk_add_f32 v[80:81], v[0:1], v[2:3]
	v_pk_add_f32 v[82:83], v[0:1], v[2:3] neg_lo:[0,1] neg_hi:[0,1]
	v_pk_add_f32 v[4:5], v[94:95], v[96:97]
	v_pk_add_f32 v[0:1], v[90:91], v[92:93]
	v_mov_b32_e32 v49, v4
	v_mov_b32_e32 v47, v0
	v_pk_add_f32 v[2:3], v[48:49], v[46:47] neg_lo:[0,1] neg_hi:[0,1]
	v_mov_b32_e32 v94, v81
	v_mov_b32_e32 v95, v46
	;; [unrolled: 1-line block ×4, first 2 shown]
	v_pk_add_f32 v[46:47], v[94:95], v[46:47]
	v_pk_add_f32 v[48:49], v[0:1], v[4:5]
	v_mov_b32_e32 v13, v112
	v_mov_b32_e32 v88, v2
	;; [unrolled: 1-line block ×7, first 2 shown]
	s_waitcnt lgkmcnt(0)
	v_pk_add_f32 v[12:13], v[54:55], v[12:13]
	v_pk_add_f32 v[88:89], v[88:89], v[90:91] neg_lo:[0,1] neg_hi:[0,1]
	v_mov_b32_e32 v90, v20
	v_mov_b32_e32 v92, v2
	;; [unrolled: 1-line block ×3, first 2 shown]
	v_pk_add_f32 v[94:95], v[4:5], v[94:95] neg_lo:[0,1] neg_hi:[0,1]
	v_mov_b32_e32 v96, v7
	v_mov_b32_e32 v97, v47
	;; [unrolled: 1-line block ×3, first 2 shown]
	v_pk_add_f32 v[46:47], v[46:47], v[48:49]
	v_pk_add_f32 v[56:57], v[42:43], v[34:35]
	v_mov_b32_e32 v34, v35
	v_mov_b32_e32 v35, v106
	;; [unrolled: 1-line block ×4, first 2 shown]
	v_fmamk_f32 v41, v112, 0xbf955555, v13
	v_pk_mul_f32 v[88:89], v[88:89], s[20:21]
	v_pk_add_f32 v[90:91], v[90:91], v[92:93] neg_lo:[0,1] neg_hi:[0,1]
	v_pk_add_f32 v[2:3], v[2:3], v[82:83]
	v_pk_add_f32 v[96:97], v[96:97], v[0:1] neg_lo:[0,1] neg_hi:[0,1]
	v_pk_add_f32 v[48:49], v[52:53], v[46:47]
	v_pk_mul_f32 v[52:53], v[94:95], s[24:25]
	s_mov_b32 s14, s17
	s_mov_b32 s22, s17
	v_pk_add_f32 v[42:43], v[34:35], v[42:43] neg_lo:[0,1] neg_hi:[0,1]
	v_mov_b32_e32 v34, v26
	v_mov_b32_e32 v35, v12
	v_pk_add_f32 v[78:79], v[40:41], v[118:119]
	v_pk_mul_f32 v[92:93], v[90:91], s[28:29]
	v_pk_add_f32 v[2:3], v[2:3], v[20:21]
	v_pk_mul_f32 v[94:95], v[96:97], s[14:15]
	v_pk_fma_f32 v[46:47], v[46:47], s[26:27], v[48:49] op_sel_hi:[1,0,1] neg_lo:[1,0,0] neg_hi:[1,0,0]
	v_pk_fma_f32 v[96:97], v[96:97], s[14:15], v[52:53]
	v_pk_fma_f32 v[90:91], v[90:91], s[28:29], v[88:89]
	v_mov_b32_e32 v0, v81
	v_mov_b32_e32 v4, v7
	v_pk_fma_f32 v[26:27], v[24:25], s[22:23], v[26:27]
	v_pk_fma_f32 v[24:25], v[24:25], s[22:23], v[34:35] neg_lo:[1,0,0] neg_hi:[1,0,0]
	v_mov_b32_e32 v34, v79
	v_pk_add_f32 v[96:97], v[96:97], v[46:47]
	v_pk_fma_f32 v[90:91], v[2:3], s[0:1], v[90:91] op_sel_hi:[1,0,1]
	v_pk_add_f32 v[20:21], v[82:83], v[20:21] neg_lo:[0,1] neg_hi:[0,1]
	s_mov_b32 s14, s1
	v_pk_add_f32 v[0:1], v[0:1], v[4:5] neg_lo:[0,1] neg_hi:[0,1]
	s_mov_b32 s16, s19
	v_mov_b32_e32 v4, v94
	v_mov_b32_e32 v5, v53
	;; [unrolled: 1-line block ×6, first 2 shown]
	v_pk_add_f32 v[86:87], v[38:39], v[106:107]
	v_pk_add_f32 v[38:39], v[78:79], v[34:35]
	;; [unrolled: 1-line block ×3, first 2 shown]
	v_pk_add_f32 v[90:91], v[96:97], v[90:91] neg_lo:[0,1] neg_hi:[0,1]
	v_pk_fma_f32 v[4:5], v[0:1], s[16:17], v[4:5] op_sel_hi:[1,0,1] neg_lo:[1,0,1] neg_hi:[1,0,1]
	v_pk_fma_f32 v[6:7], v[20:21], s[14:15], v[6:7] op_sel_hi:[1,0,1] neg_lo:[1,0,1] neg_hi:[1,0,1]
	;; [unrolled: 1-line block ×4, first 2 shown]
	v_mov_b32_e32 v96, v100
	v_mov_b32_e32 v97, v91
	v_accvgpr_read_b32 v39, a88
	v_pk_add_f32 v[4:5], v[4:5], v[46:47]
	v_pk_fma_f32 v[6:7], v[2:3], s[0:1], v[6:7] op_sel_hi:[1,0,1]
	v_pk_add_f32 v[0:1], v[0:1], v[46:47]
	v_pk_fma_f32 v[2:3], v[2:3], s[0:1], v[20:21] op_sel_hi:[1,0,1]
	v_mov_b32_e32 v27, v25
	v_mov_b32_e32 v112, v25
	s_waitcnt lgkmcnt(0)
	; wave barrier
	ds_write2_b64 v39, v[48:49], v[96:97] offset1:12
	v_pk_add_f32 v[48:49], v[4:5], v[6:7]
	v_pk_add_f32 v[4:5], v[4:5], v[6:7] neg_lo:[0,1] neg_hi:[0,1]
	v_pk_add_f32 v[20:21], v[0:1], v[2:3] neg_lo:[0,1] neg_hi:[0,1]
	v_pk_add_f32 v[0:1], v[0:1], v[2:3]
	v_pk_add_f32 v[54:55], v[40:41], v[104:105]
	;; [unrolled: 1-line block ×3, first 2 shown]
	v_mov_b32_e32 v7, v5
	v_mov_b32_e32 v3, v1
	;; [unrolled: 1-line block ×6, first 2 shown]
	ds_write2_b64 v39, v[0:1], v[4:5] offset0:48 offset1:60
	v_mov_b32_e32 v0, v26
	v_mov_b32_e32 v1, v54
	ds_write2_b64 v39, v[6:7], v[2:3] offset0:24 offset1:36
	v_pk_add_f32 v[2:3], v[50:51], v[26:27]
	v_pk_add_f32 v[0:1], v[54:55], v[0:1] neg_lo:[0,1] neg_hi:[0,1]
	v_mov_b32_e32 v91, v101
	v_mov_b32_e32 v3, v1
	v_accvgpr_read_b32 v20, a85
	ds_write_b64 v39, v[90:91] offset:576
	ds_write2_b64 v20, v[12:13], v[2:3] offset1:12
	v_mov_b32_e32 v0, v51
	v_mov_b32_e32 v2, v27
	;; [unrolled: 1-line block ×3, first 2 shown]
	v_pk_add_f32 v[14:15], v[14:15], v[112:113]
	v_pk_add_f32 v[24:25], v[108:109], v[40:41]
	;; [unrolled: 1-line block ×3, first 2 shown]
	v_pk_add_f32 v[0:1], v[78:79], v[2:3] neg_lo:[0,1] neg_hi:[0,1]
	v_mov_b32_e32 v3, v24
	v_mov_b32_e32 v5, v1
	;; [unrolled: 1-line block ×6, first 2 shown]
	v_pk_add_f32 v[34:35], v[26:27], v[50:51] neg_lo:[0,1] neg_hi:[0,1]
	v_mov_b32_e32 v40, v55
	v_pk_add_f32 v[12:13], v[14:15], v[44:45] neg_lo:[0,1] neg_hi:[0,1]
	v_pk_add_f32 v[0:1], v[0:1], v[6:7]
	v_pk_add_f32 v[2:3], v[24:25], v[2:3] neg_lo:[0,1] neg_hi:[0,1]
	v_pk_add_f32 v[40:41], v[54:55], v[40:41]
	v_mov_b32_e32 v13, v1
	v_mov_b32_e32 v1, v3
	;; [unrolled: 1-line block ×4, first 2 shown]
	ds_write2_b64 v20, v[0:1], v[2:3] offset0:48 offset1:60
	v_mov_b32_e32 v2, v34
	v_mov_b32_e32 v3, v40
	ds_write_b64 v20, v[2:3] offset:576
	v_mov_b32_e32 v2, v57
	v_mov_b32_e32 v3, v37
	v_accvgpr_read_b32 v6, a89
	ds_write2_b64 v20, v[4:5], v[12:13] offset0:24 offset1:36
	ds_write2_b64 v6, v[22:23], v[2:3] offset1:12
	v_mov_b32_e32 v2, v56
	v_mov_b32_e32 v3, v36
	;; [unrolled: 1-line block ×4, first 2 shown]
	ds_write2_b64 v6, v[2:3], v[4:5] offset0:24 offset1:36
	v_mov_b32_e32 v2, v84
	v_mov_b32_e32 v3, v43
	;; [unrolled: 1-line block ×4, first 2 shown]
	ds_write2_b64 v6, v[2:3], v[4:5] offset0:48 offset1:60
	v_mov_b32_e32 v2, v42
	v_mov_b32_e32 v3, v85
	ds_write_b64 v6, v[2:3] offset:576
	v_add_u32_e32 v2, 0xc00, v122
	s_waitcnt lgkmcnt(0)
	; wave barrier
	s_waitcnt lgkmcnt(0)
	ds_read2_b64 v[4:7], v122 offset1:84
	ds_read2_b64 v[78:81], v122 offset0:168 offset1:252
	ds_read2_b64 v[52:55], v99 offset0:80 offset1:164
	;; [unrolled: 1-line block ×4, first 2 shown]
	ds_read_b64 v[82:83], v122 offset:6720
	s_and_saveexec_b64 s[0:1], s[4:5]
	s_xor_b64 s[0:1], exec, s[0:1]
	s_or_saveexec_b64 s[0:1], s[0:1]
	v_mov_b32_e32 v104, v60
	v_mov_b32_e32 v105, v60
	;; [unrolled: 1-line block ×27, first 2 shown]
	s_xor_b64 exec, exec, s[0:1]
	s_cbranch_execz .LBB0_27
; %bb.26:
	v_add_u32_e32 v12, 0x400, v122
	ds_read2_b64 v[20:23], v12 offset0:84 offset1:168
	v_add_u32_e32 v12, 0x1000, v122
	ds_read2_b64 v[32:35], v12 offset0:36 offset1:120
	;; [unrolled: 2-line block ×3, first 2 shown]
	ds_read2_b64 v[40:43], v12 offset0:76 offset1:160
	v_add_u32_e32 v12, 0x800, v122
	ds_read2_b64 v[36:39], v12 offset0:124 offset1:208
	ds_read_b64 v[170:171], v122 offset:7072
	s_waitcnt lgkmcnt(4)
	v_mov_b32_e32 v86, v33
	v_mov_b32_e32 v84, v34
	s_waitcnt lgkmcnt(2)
	v_mov_b32_e32 v87, v41
	v_mov_b32_e32 v85, v43
	;; [unrolled: 3-line block ×3, first 2 shown]
	v_mov_b32_e32 v33, v40
	v_mov_b32_e32 v43, v35
	;; [unrolled: 1-line block ×7, first 2 shown]
.LBB0_27:
	s_or_b64 exec, exec, s[0:1]
	s_waitcnt lgkmcnt(4)
	v_pk_mul_f32 v[12:13], v[60:61], v[78:79]
	v_pk_mul_f32 v[14:15], v[70:71], v[80:81]
	s_waitcnt lgkmcnt(2)
	v_pk_mul_f32 v[60:61], v[62:63], v[50:51]
	s_waitcnt lgkmcnt(1)
	v_pk_mul_f32 v[62:63], v[64:65], v[44:45]
	v_pk_mul_f32 v[64:65], v[66:67], v[46:47]
	s_waitcnt lgkmcnt(0)
	v_pk_mul_f32 v[66:67], v[68:69], v[82:83]
	v_pk_fma_f32 v[68:69], v[104:105], v[78:79], v[12:13] op_sel:[0,0,1] op_sel_hi:[1,1,0]
	v_pk_fma_f32 v[12:13], v[104:105], v[78:79], v[12:13] op_sel:[0,0,1] op_sel_hi:[1,1,0] neg_lo:[0,0,1] neg_hi:[0,0,1]
	v_pk_mul_f32 v[20:21], v[72:73], v[52:53]
	v_mov_b32_e32 v69, v13
	v_pk_fma_f32 v[12:13], v[102:103], v[80:81], v[14:15] op_sel:[0,0,1] op_sel_hi:[1,1,0]
	v_pk_fma_f32 v[14:15], v[102:103], v[80:81], v[14:15] op_sel:[0,0,1] op_sel_hi:[1,1,0] neg_lo:[0,0,1] neg_hi:[0,0,1]
	v_pk_mul_f32 v[24:25], v[74:75], v[54:55]
	v_mov_b32_e32 v13, v15
	;; [unrolled: 4-line block ×3, first 2 shown]
	v_pk_fma_f32 v[20:21], v[98:99], v[54:55], v[24:25] op_sel:[0,0,1] op_sel_hi:[1,1,0]
	v_pk_fma_f32 v[24:25], v[98:99], v[54:55], v[24:25] op_sel:[0,0,1] op_sel_hi:[1,1,0] neg_lo:[0,0,1] neg_hi:[0,0,1]
	v_pk_mul_f32 v[2:3], v[58:59], v[6:7] op_sel:[1,0]
	v_mov_b32_e32 v21, v25
	v_pk_fma_f32 v[24:25], v[96:97], v[48:49], v[26:27] op_sel:[0,0,1] op_sel_hi:[1,1,0]
	v_pk_fma_f32 v[26:27], v[96:97], v[48:49], v[26:27] op_sel:[0,0,1] op_sel_hi:[1,1,0] neg_lo:[0,0,1] neg_hi:[0,0,1]
	v_pk_fma_f32 v[48:49], v[94:95], v[50:51], v[60:61] op_sel:[0,0,1] op_sel_hi:[1,1,0] neg_lo:[0,0,1] neg_hi:[0,0,1]
	v_mov_b32_e32 v25, v27
	v_pk_fma_f32 v[26:27], v[94:95], v[50:51], v[60:61] op_sel:[0,0,1] op_sel_hi:[1,1,0]
	v_pk_fma_f32 v[50:51], v[88:89], v[82:83], v[66:67] op_sel:[0,0,1] op_sel_hi:[1,1,0] neg_lo:[0,0,1] neg_hi:[0,0,1]
	v_mov_b32_e32 v27, v49
	v_pk_fma_f32 v[48:49], v[92:93], v[44:45], v[62:63] op_sel:[0,0,1] op_sel_hi:[1,1,0]
	v_pk_fma_f32 v[44:45], v[92:93], v[44:45], v[62:63] op_sel:[0,0,1] op_sel_hi:[1,1,0] neg_lo:[0,0,1] neg_hi:[0,0,1]
	s_mov_b32 s14, 0xbf0a6770
	v_mov_b32_e32 v49, v45
	v_pk_fma_f32 v[44:45], v[90:91], v[46:47], v[64:65] op_sel:[0,0,1] op_sel_hi:[1,1,0]
	v_pk_fma_f32 v[46:47], v[90:91], v[46:47], v[64:65] op_sel:[0,0,1] op_sel_hi:[1,1,0] neg_lo:[0,0,1] neg_hi:[0,0,1]
	s_mov_b32 s0, 0x3f575c64
	v_mov_b32_e32 v45, v47
	v_pk_fma_f32 v[46:47], v[88:89], v[82:83], v[66:67] op_sel:[0,0,1] op_sel_hi:[1,1,0]
	s_mov_b32 s18, 0xbf68dda4
	v_mov_b32_e32 v47, v51
	v_pk_fma_f32 v[50:51], v[58:59], v[6:7], v[2:3] op_sel:[0,0,1] op_sel_hi:[1,1,0]
	v_pk_fma_f32 v[2:3], v[58:59], v[6:7], v[2:3] op_sel:[0,0,1] op_sel_hi:[0,1,0] neg_lo:[0,0,1] neg_hi:[0,0,1]
	v_mov_b32_e32 v51, v3
	v_pk_add_f32 v[2:3], v[4:5], v[50:51]
	v_pk_add_f32 v[6:7], v[50:51], v[46:47]
	;; [unrolled: 1-line block ×5, first 2 shown]
	s_mov_b32 s4, 0x3ed4b147
	v_pk_add_f32 v[2:3], v[2:3], v[14:15]
	s_mov_b32 s24, 0xbf7d64f0
	v_pk_add_f32 v[2:3], v[2:3], v[20:21]
	;; [unrolled: 2-line block ×6, first 2 shown]
	v_pk_add_f32 v[44:45], v[68:69], v[44:45] neg_lo:[0,1] neg_hi:[0,1]
	v_pk_add_f32 v[2:3], v[2:3], v[46:47]
	v_pk_add_f32 v[46:47], v[50:51], v[46:47] neg_lo:[0,1] neg_hi:[0,1]
	v_pk_mul_f32 v[60:61], v[44:45], s[18:19] op_sel_hi:[1,0]
	v_pk_mul_f32 v[50:51], v[46:47], s[14:15] op_sel_hi:[1,0]
	v_pk_fma_f32 v[62:63], v[58:59], s[4:5], v[60:61] op_sel:[0,0,1] op_sel_hi:[1,0,0]
	v_pk_fma_f32 v[52:53], v[6:7], s[0:1], v[50:51] op_sel:[0,0,1] op_sel_hi:[1,0,0]
	v_pk_fma_f32 v[50:51], v[6:7], s[0:1], v[50:51] op_sel:[0,0,1] op_sel_hi:[1,0,0] neg_lo:[0,0,1] neg_hi:[0,0,1]
	v_mov_b32_e32 v54, v52
	v_mov_b32_e32 v55, v51
	v_pk_fma_f32 v[60:61], v[58:59], s[4:5], v[60:61] op_sel:[0,0,1] op_sel_hi:[1,0,0] neg_lo:[0,0,1] neg_hi:[0,0,1]
	v_pk_add_f32 v[54:55], v[4:5], v[54:55]
	v_mov_b32_e32 v64, v62
	v_mov_b32_e32 v65, v61
	v_pk_add_f32 v[54:55], v[64:65], v[54:55]
	v_pk_add_f32 v[64:65], v[12:13], v[48:49]
	v_pk_add_f32 v[12:13], v[12:13], v[48:49] neg_lo:[0,1] neg_hi:[0,1]
	s_mov_b32 s22, 0xbf75a155
	v_pk_mul_f32 v[48:49], v[12:13], s[24:25] op_sel_hi:[1,0]
	v_pk_mul_f32 v[78:79], v[44:45], s[26:27] op_sel_hi:[1,0]
	v_pk_fma_f32 v[66:67], v[64:65], s[16:17], v[48:49] op_sel:[0,0,1] op_sel_hi:[1,0,0]
	v_pk_fma_f32 v[48:49], v[64:65], s[16:17], v[48:49] op_sel:[0,0,1] op_sel_hi:[1,0,0] neg_lo:[0,0,1] neg_hi:[0,0,1]
	v_mov_b32_e32 v68, v66
	v_mov_b32_e32 v69, v49
	v_pk_add_f32 v[54:55], v[68:69], v[54:55]
	v_pk_add_f32 v[68:69], v[14:15], v[26:27]
	v_pk_add_f32 v[14:15], v[14:15], v[26:27] neg_lo:[0,1] neg_hi:[0,1]
	v_pk_fma_f32 v[80:81], v[58:59], s[20:21], v[78:79] op_sel:[0,0,1] op_sel_hi:[1,0,0]
	v_pk_mul_f32 v[26:27], v[14:15], s[26:27] op_sel_hi:[1,0]
	v_pk_fma_f32 v[78:79], v[58:59], s[20:21], v[78:79] op_sel:[0,0,1] op_sel_hi:[1,0,0] neg_lo:[0,0,1] neg_hi:[0,0,1]
	v_pk_fma_f32 v[70:71], v[68:69], s[20:21], v[26:27] op_sel:[0,0,1] op_sel_hi:[1,0,0]
	v_pk_fma_f32 v[26:27], v[68:69], s[20:21], v[26:27] op_sel:[0,0,1] op_sel_hi:[1,0,0] neg_lo:[0,0,1] neg_hi:[0,0,1]
	v_mov_b32_e32 v72, v70
	v_mov_b32_e32 v73, v27
	v_pk_add_f32 v[54:55], v[72:73], v[54:55]
	v_pk_add_f32 v[72:73], v[20:21], v[24:25]
	v_pk_add_f32 v[20:21], v[20:21], v[24:25] neg_lo:[0,1] neg_hi:[0,1]
	v_mov_b32_e32 v82, v80
	v_pk_mul_f32 v[24:25], v[20:21], s[28:29] op_sel_hi:[1,0]
	v_mov_b32_e32 v83, v79
	v_pk_fma_f32 v[74:75], v[72:73], s[22:23], v[24:25] op_sel:[0,0,1] op_sel_hi:[1,0,0]
	v_pk_fma_f32 v[24:25], v[72:73], s[22:23], v[24:25] op_sel:[0,0,1] op_sel_hi:[1,0,0] neg_lo:[0,0,1] neg_hi:[0,0,1]
	v_mov_b32_e32 v76, v74
	v_mov_b32_e32 v77, v25
	v_pk_add_f32 v[54:55], v[76:77], v[54:55]
	ds_write2_b64 v122, v[2:3], v[54:55] offset1:84
	v_pk_mul_f32 v[2:3], v[46:47], s[18:19] op_sel_hi:[1,0]
	s_mov_b32 s40, 0x3e903f40
	v_pk_fma_f32 v[54:55], v[6:7], s[4:5], v[2:3] op_sel:[0,0,1] op_sel_hi:[1,0,0]
	v_pk_fma_f32 v[76:77], v[6:7], s[4:5], v[2:3] op_sel:[0,0,1] op_sel_hi:[1,0,0] neg_lo:[0,0,1] neg_hi:[0,0,1]
	v_mov_b32_e32 v2, v54
	v_mov_b32_e32 v3, v77
	v_pk_add_f32 v[2:3], v[4:5], v[2:3]
	s_mov_b32 s36, 0x3f7d64f0
	v_pk_add_f32 v[2:3], v[82:83], v[2:3]
	v_pk_mul_f32 v[82:83], v[12:13], s[40:41] op_sel_hi:[1,0]
	s_mov_b32 s30, 0x3f0a6770
	v_pk_fma_f32 v[88:89], v[64:65], s[22:23], v[82:83] op_sel:[0,0,1] op_sel_hi:[1,0,0]
	v_pk_fma_f32 v[82:83], v[64:65], s[22:23], v[82:83] op_sel:[0,0,1] op_sel_hi:[1,0,0] neg_lo:[0,0,1] neg_hi:[0,0,1]
	v_mov_b32_e32 v90, v88
	v_mov_b32_e32 v91, v83
	v_pk_add_f32 v[2:3], v[90:91], v[2:3]
	v_pk_mul_f32 v[90:91], v[14:15], s[36:37] op_sel_hi:[1,0]
	v_pk_mul_f32 v[104:105], v[44:45], s[40:41] op_sel_hi:[1,0]
	v_pk_fma_f32 v[92:93], v[68:69], s[16:17], v[90:91] op_sel:[0,0,1] op_sel_hi:[1,0,0]
	v_pk_fma_f32 v[90:91], v[68:69], s[16:17], v[90:91] op_sel:[0,0,1] op_sel_hi:[1,0,0] neg_lo:[0,0,1] neg_hi:[0,0,1]
	v_mov_b32_e32 v94, v92
	v_mov_b32_e32 v95, v91
	v_pk_add_f32 v[2:3], v[94:95], v[2:3]
	v_pk_mul_f32 v[94:95], v[20:21], s[30:31] op_sel_hi:[1,0]
	v_pk_fma_f32 v[106:107], v[58:59], s[22:23], v[104:105] op_sel:[0,0,1] op_sel_hi:[1,0,0]
	v_pk_fma_f32 v[96:97], v[72:73], s[0:1], v[94:95] op_sel:[0,0,1] op_sel_hi:[1,0,0]
	v_pk_fma_f32 v[94:95], v[72:73], s[0:1], v[94:95] op_sel:[0,0,1] op_sel_hi:[1,0,0] neg_lo:[0,0,1] neg_hi:[0,0,1]
	v_mov_b32_e32 v98, v96
	v_mov_b32_e32 v99, v95
	v_pk_add_f32 v[2:3], v[98:99], v[2:3]
	v_pk_mul_f32 v[98:99], v[46:47], s[24:25] op_sel_hi:[1,0]
	v_pk_fma_f32 v[104:105], v[58:59], s[22:23], v[104:105] op_sel:[0,0,1] op_sel_hi:[1,0,0] neg_lo:[0,0,1] neg_hi:[0,0,1]
	v_pk_fma_f32 v[100:101], v[6:7], s[16:17], v[98:99] op_sel:[0,0,1] op_sel_hi:[1,0,0]
	v_pk_fma_f32 v[98:99], v[6:7], s[16:17], v[98:99] op_sel:[0,0,1] op_sel_hi:[1,0,0] neg_lo:[0,0,1] neg_hi:[0,0,1]
	v_mov_b32_e32 v102, v100
	v_mov_b32_e32 v103, v99
	v_pk_add_f32 v[102:103], v[4:5], v[102:103]
	v_mov_b32_e32 v108, v106
	v_mov_b32_e32 v109, v105
	s_mov_b32 s34, 0x3f68dda4
	v_pk_add_f32 v[102:103], v[108:109], v[102:103]
	v_pk_mul_f32 v[108:109], v[12:13], s[34:35] op_sel_hi:[1,0]
	v_pk_mul_f32 v[124:125], v[44:45], s[36:37] op_sel_hi:[1,0]
	v_pk_fma_f32 v[110:111], v[64:65], s[4:5], v[108:109] op_sel:[0,0,1] op_sel_hi:[1,0,0]
	v_pk_fma_f32 v[108:109], v[64:65], s[4:5], v[108:109] op_sel:[0,0,1] op_sel_hi:[1,0,0] neg_lo:[0,0,1] neg_hi:[0,0,1]
	v_mov_b32_e32 v112, v110
	v_mov_b32_e32 v113, v109
	v_pk_add_f32 v[102:103], v[112:113], v[102:103]
	v_pk_mul_f32 v[112:113], v[14:15], s[14:15] op_sel_hi:[1,0]
	v_pk_fma_f32 v[126:127], v[58:59], s[16:17], v[124:125] op_sel:[0,0,1] op_sel_hi:[1,0,0]
	v_pk_fma_f32 v[114:115], v[68:69], s[0:1], v[112:113] op_sel:[0,0,1] op_sel_hi:[1,0,0]
	v_pk_fma_f32 v[112:113], v[68:69], s[0:1], v[112:113] op_sel:[0,0,1] op_sel_hi:[1,0,0] neg_lo:[0,0,1] neg_hi:[0,0,1]
	v_mov_b32_e32 v116, v114
	v_mov_b32_e32 v117, v113
	v_pk_add_f32 v[102:103], v[116:117], v[102:103]
	v_pk_mul_f32 v[116:117], v[20:21], s[26:27] op_sel_hi:[1,0]
	v_pk_fma_f32 v[124:125], v[58:59], s[16:17], v[124:125] op_sel:[0,0,1] op_sel_hi:[1,0,0] neg_lo:[0,0,1] neg_hi:[0,0,1]
	v_pk_fma_f32 v[118:119], v[72:73], s[20:21], v[116:117] op_sel:[0,0,1] op_sel_hi:[1,0,0]
	v_pk_fma_f32 v[116:117], v[72:73], s[20:21], v[116:117] op_sel:[0,0,1] op_sel_hi:[1,0,0] neg_lo:[0,0,1] neg_hi:[0,0,1]
	v_mov_b32_e32 v120, v118
	v_mov_b32_e32 v121, v117
	v_pk_add_f32 v[102:103], v[120:121], v[102:103]
	ds_write2_b64 v122, v[2:3], v[102:103] offset0:168 offset1:252
	v_pk_mul_f32 v[2:3], v[46:47], s[26:27] op_sel_hi:[1,0]
	v_mov_b32_e32 v128, v126
	v_pk_fma_f32 v[102:103], v[6:7], s[20:21], v[2:3] op_sel:[0,0,1] op_sel_hi:[1,0,0]
	v_pk_fma_f32 v[120:121], v[6:7], s[20:21], v[2:3] op_sel:[0,0,1] op_sel_hi:[1,0,0] neg_lo:[0,0,1] neg_hi:[0,0,1]
	v_mov_b32_e32 v2, v102
	v_mov_b32_e32 v3, v121
	v_pk_add_f32 v[2:3], v[4:5], v[2:3]
	v_mov_b32_e32 v129, v125
	v_pk_add_f32 v[2:3], v[128:129], v[2:3]
	v_pk_mul_f32 v[128:129], v[12:13], s[14:15] op_sel_hi:[1,0]
	v_pk_mul_f32 v[44:45], v[44:45], s[30:31] op_sel_hi:[1,0]
	v_pk_fma_f32 v[130:131], v[64:65], s[0:1], v[128:129] op_sel:[0,0,1] op_sel_hi:[1,0,0]
	v_pk_fma_f32 v[128:129], v[64:65], s[0:1], v[128:129] op_sel:[0,0,1] op_sel_hi:[1,0,0] neg_lo:[0,0,1] neg_hi:[0,0,1]
	v_mov_b32_e32 v132, v130
	v_mov_b32_e32 v133, v129
	v_pk_add_f32 v[2:3], v[132:133], v[2:3]
	v_pk_mul_f32 v[132:133], v[14:15], s[28:29] op_sel_hi:[1,0]
	v_pk_fma_f32 v[142:143], v[58:59], s[0:1], v[44:45] op_sel:[0,0,1] op_sel_hi:[1,0,0]
	v_pk_fma_f32 v[134:135], v[68:69], s[22:23], v[132:133] op_sel:[0,0,1] op_sel_hi:[1,0,0]
	v_pk_fma_f32 v[132:133], v[68:69], s[22:23], v[132:133] op_sel:[0,0,1] op_sel_hi:[1,0,0] neg_lo:[0,0,1] neg_hi:[0,0,1]
	v_mov_b32_e32 v136, v134
	v_mov_b32_e32 v137, v133
	v_pk_add_f32 v[2:3], v[136:137], v[2:3]
	v_pk_mul_f32 v[136:137], v[20:21], s[34:35] op_sel_hi:[1,0]
	v_pk_fma_f32 v[44:45], v[58:59], s[0:1], v[44:45] op_sel:[0,0,1] op_sel_hi:[1,0,0] neg_lo:[0,0,1] neg_hi:[0,0,1]
	v_pk_fma_f32 v[138:139], v[72:73], s[4:5], v[136:137] op_sel:[0,0,1] op_sel_hi:[1,0,0]
	v_pk_fma_f32 v[136:137], v[72:73], s[4:5], v[136:137] op_sel:[0,0,1] op_sel_hi:[1,0,0] neg_lo:[0,0,1] neg_hi:[0,0,1]
	v_mov_b32_e32 v140, v138
	v_mov_b32_e32 v141, v137
	v_pk_add_f32 v[140:141], v[140:141], v[2:3]
	v_pk_mul_f32 v[2:3], v[46:47], s[28:29] op_sel_hi:[1,0]
	v_mov_b32_e32 v58, v142
	v_pk_fma_f32 v[46:47], v[6:7], s[22:23], v[2:3] op_sel:[0,0,1] op_sel_hi:[1,0,0]
	v_pk_fma_f32 v[6:7], v[6:7], s[22:23], v[2:3] op_sel:[0,0,1] op_sel_hi:[1,0,0] neg_lo:[0,0,1] neg_hi:[0,0,1]
	v_mov_b32_e32 v2, v46
	v_mov_b32_e32 v3, v7
	v_pk_add_f32 v[2:3], v[4:5], v[2:3]
	v_mov_b32_e32 v59, v45
	v_pk_mul_f32 v[12:13], v[12:13], s[26:27] op_sel_hi:[1,0]
	v_mov_b32_e32 v7, v47
	v_pk_add_f32 v[2:3], v[58:59], v[2:3]
	v_pk_fma_f32 v[58:59], v[64:65], s[20:21], v[12:13] op_sel:[0,0,1] op_sel_hi:[1,0,0]
	v_pk_fma_f32 v[12:13], v[64:65], s[20:21], v[12:13] op_sel:[0,0,1] op_sel_hi:[1,0,0] neg_lo:[0,0,1] neg_hi:[0,0,1]
	v_pk_add_f32 v[6:7], v[4:5], v[6:7]
	v_mov_b32_e32 v45, v143
	v_mov_b32_e32 v64, v58
	;; [unrolled: 1-line block ×3, first 2 shown]
	v_pk_mul_f32 v[14:15], v[14:15], s[34:35] op_sel_hi:[1,0]
	v_pk_add_f32 v[6:7], v[44:45], v[6:7]
	v_mov_b32_e32 v13, v59
	v_mov_b32_e32 v121, v103
	v_pk_add_f32 v[2:3], v[64:65], v[2:3]
	v_pk_fma_f32 v[64:65], v[68:69], s[4:5], v[14:15] op_sel:[0,0,1] op_sel_hi:[1,0,0]
	v_pk_fma_f32 v[14:15], v[68:69], s[4:5], v[14:15] op_sel:[0,0,1] op_sel_hi:[1,0,0] neg_lo:[0,0,1] neg_hi:[0,0,1]
	v_pk_add_f32 v[6:7], v[12:13], v[6:7]
	v_pk_add_f32 v[12:13], v[4:5], v[120:121]
	v_mov_b32_e32 v125, v127
	v_mov_b32_e32 v68, v64
	;; [unrolled: 1-line block ×3, first 2 shown]
	v_pk_mul_f32 v[20:21], v[20:21], s[24:25] op_sel_hi:[1,0]
	v_pk_add_f32 v[12:13], v[124:125], v[12:13]
	v_mov_b32_e32 v129, v131
	v_pk_add_f32 v[2:3], v[68:69], v[2:3]
	v_pk_fma_f32 v[68:69], v[72:73], s[16:17], v[20:21] op_sel:[0,0,1] op_sel_hi:[1,0,0]
	v_pk_fma_f32 v[20:21], v[72:73], s[16:17], v[20:21] op_sel:[0,0,1] op_sel_hi:[1,0,0] neg_lo:[0,0,1] neg_hi:[0,0,1]
	v_mov_b32_e32 v15, v65
	v_pk_add_f32 v[12:13], v[128:129], v[12:13]
	v_mov_b32_e32 v133, v135
	v_mov_b32_e32 v72, v68
	;; [unrolled: 1-line block ×3, first 2 shown]
	v_pk_add_f32 v[6:7], v[14:15], v[6:7]
	v_mov_b32_e32 v21, v69
	v_pk_add_f32 v[12:13], v[132:133], v[12:13]
	v_mov_b32_e32 v137, v139
	v_pk_add_f32 v[72:73], v[72:73], v[2:3]
	v_pk_add_f32 v[6:7], v[20:21], v[6:7]
	;; [unrolled: 1-line block ×3, first 2 shown]
	v_add_u32_e32 v3, 0xc00, v122
	v_mov_b32_e32 v99, v101
	v_mov_b32_e32 v77, v55
	;; [unrolled: 1-line block ×3, first 2 shown]
	ds_write2_b64 v3, v[6:7], v[12:13] offset0:120 offset1:204
	v_pk_add_f32 v[6:7], v[4:5], v[98:99]
	v_mov_b32_e32 v105, v107
	v_pk_add_f32 v[12:13], v[4:5], v[76:77]
	v_mov_b32_e32 v79, v81
	;; [unrolled: 2-line block ×12, first 2 shown]
	v_add_u32_e32 v2, 0x800, v122
	v_pk_add_f32 v[6:7], v[116:117], v[6:7]
	v_pk_add_f32 v[12:13], v[94:95], v[12:13]
	v_add_u32_e32 v3, 0x1000, v122
	v_pk_add_f32 v[4:5], v[24:25], v[4:5]
	ds_write2_b64 v2, v[140:141], v[72:73] offset0:80 offset1:164
	ds_write2_b64 v3, v[6:7], v[12:13] offset0:160 offset1:244
	ds_write_b64 v122, v[4:5] offset:6720
	s_and_saveexec_b64 s[38:39], s[2:3]
	s_cbranch_execz .LBB0_29
; %bb.28:
	v_pk_mul_f32 v[6:7], v[30:31], v[170:171] op_sel:[0,1]
	v_pk_mul_f32 v[14:15], v[28:29], v[84:85] op_sel:[0,1]
	v_pk_fma_f32 v[44:45], v[30:31], v[170:171], v[6:7] op_sel:[0,0,1] op_sel_hi:[1,1,0]
	v_pk_fma_f32 v[6:7], v[30:31], v[170:171], v[6:7] op_sel:[0,0,1] op_sel_hi:[1,0,0] neg_lo:[1,0,0] neg_hi:[1,0,0]
	v_pk_mul_f32 v[12:13], v[10:11], v[40:41] op_sel_hi:[1,0]
	v_accvgpr_read_b32 v46, a52
	v_mov_b32_e32 v45, v7
	v_pk_fma_f32 v[6:7], v[28:29], v[42:43], v[14:15] op_sel:[0,0,1] op_sel_hi:[1,1,0]
	v_pk_fma_f32 v[14:15], v[28:29], v[42:43], v[14:15] op_sel:[0,0,1] op_sel_hi:[1,0,0] neg_lo:[1,0,0] neg_hi:[1,0,0]
	v_accvgpr_read_b32 v47, a53
	v_pk_mul_f32 v[24:25], v[18:19], v[86:87] op_sel:[0,1]
	v_mov_b32_e32 v7, v15
	v_pk_fma_f32 v[14:15], v[10:11], v[34:35], v[12:13] op_sel:[0,0,1] op_sel_hi:[1,1,0]
	v_pk_fma_f32 v[10:11], v[10:11], v[34:35], v[12:13] op_sel:[0,0,1] op_sel_hi:[1,0,0] neg_lo:[1,0,0] neg_hi:[1,0,0]
	v_pk_mul_f32 v[20:21], v[46:47], v[22:23] op_sel:[0,1]
	v_mov_b32_e32 v15, v11
	v_pk_fma_f32 v[10:11], v[18:19], v[32:33], v[24:25] op_sel:[0,1,1] op_sel_hi:[1,1,0]
	v_pk_fma_f32 v[12:13], v[18:19], v[32:33], v[24:25] op_sel:[0,1,1] op_sel_hi:[1,1,0] neg_lo:[1,0,0] neg_hi:[1,0,0]
	v_pk_mul_f32 v[4:5], v[8:9], v[38:39] op_sel_hi:[1,0]
	v_accvgpr_read_b32 v48, a54
	v_accvgpr_read_b32 v49, a55
	v_pk_mul_f32 v[38:39], v[16:17], v[42:43] op_sel:[0,1]
	v_accvgpr_read_b32 v50, a62
	v_mov_b32_e32 v11, v13
	v_pk_fma_f32 v[12:13], v[46:47], v[22:23], v[20:21] op_sel:[0,0,1] op_sel_hi:[1,1,0]
	v_pk_fma_f32 v[18:19], v[46:47], v[22:23], v[20:21] op_sel:[0,0,1] op_sel_hi:[1,0,0] neg_lo:[1,0,0] neg_hi:[1,0,0]
	v_pk_mul_f32 v[26:27], v[48:49], v[36:37] op_sel:[0,1]
	v_accvgpr_read_b32 v52, a64
	v_accvgpr_read_b32 v53, a65
	v_mov_b32_e32 v13, v19
	v_pk_fma_f32 v[18:19], v[16:17], v[84:85], v[38:39] op_sel:[0,0,1] op_sel_hi:[1,1,0]
	v_pk_fma_f32 v[16:17], v[16:17], v[84:85], v[38:39] op_sel:[0,0,1] op_sel_hi:[1,0,0] neg_lo:[1,0,0] neg_hi:[1,0,0]
	v_accvgpr_read_b32 v51, a63
	v_pk_mul_f32 v[40:41], v[52:53], v[86:87] op_sel_hi:[1,0]
	v_mov_b32_e32 v19, v17
	v_pk_fma_f32 v[16:17], v[48:49], v[56:57], v[26:27] op_sel:[0,1,1] op_sel_hi:[1,1,0]
	v_pk_fma_f32 v[20:21], v[48:49], v[56:57], v[26:27] op_sel:[0,1,1] op_sel_hi:[1,1,0] neg_lo:[1,0,0] neg_hi:[1,0,0]
	v_pk_mul_f32 v[36:37], v[50:51], v[36:37] op_sel_hi:[1,0]
	v_mov_b32_e32 v17, v21
	v_pk_fma_f32 v[20:21], v[52:53], v[32:33], v[40:41] op_sel:[0,0,1] op_sel_hi:[1,1,0]
	v_pk_fma_f32 v[22:23], v[52:53], v[32:33], v[40:41] op_sel:[0,0,1] op_sel_hi:[1,0,0] neg_lo:[1,0,0] neg_hi:[1,0,0]
	v_pk_fma_f32 v[24:25], v[50:51], v[56:57], v[36:37] op_sel:[0,0,1] op_sel_hi:[1,0,0] neg_lo:[1,0,0] neg_hi:[1,0,0]
	v_mov_b32_e32 v21, v23
	v_pk_fma_f32 v[22:23], v[50:51], v[56:57], v[36:37] op_sel:[0,0,1] op_sel_hi:[1,1,0]
	v_pk_add_f32 v[28:29], v[6:7], v[14:15]
	v_mov_b32_e32 v23, v25
	v_pk_fma_f32 v[24:25], v[8:9], v[34:35], v[4:5] op_sel:[0,1,1] op_sel_hi:[1,1,0]
	v_pk_fma_f32 v[4:5], v[8:9], v[34:35], v[4:5] op_sel:[0,1,1] op_sel_hi:[1,1,0] neg_lo:[1,0,0] neg_hi:[1,0,0]
	v_pk_add_f32 v[30:31], v[14:15], v[6:7] neg_lo:[0,1] neg_hi:[0,1]
	v_mov_b32_e32 v25, v5
	v_pk_add_f32 v[4:5], v[44:45], v[24:25]
	v_pk_add_f32 v[8:9], v[24:25], v[44:45] neg_lo:[0,1] neg_hi:[0,1]
	v_pk_add_f32 v[24:25], v[0:1], v[24:25]
	v_pk_add_f32 v[34:35], v[10:11], v[12:13]
	v_pk_add_f32 v[14:15], v[14:15], v[24:25]
	v_pk_add_f32 v[36:37], v[12:13], v[10:11] neg_lo:[0,1] neg_hi:[0,1]
	v_pk_add_f32 v[12:13], v[12:13], v[14:15]
	v_pk_mul_f32 v[26:27], v[8:9], s[18:19] op_sel_hi:[1,0]
	v_pk_add_f32 v[12:13], v[16:17], v[12:13]
	v_pk_mul_f32 v[32:33], v[30:31], s[26:27] op_sel_hi:[1,0]
	v_pk_add_f32 v[12:13], v[22:23], v[12:13]
	v_pk_fma_f32 v[54:55], v[4:5], s[4:5], v[26:27] op_sel:[0,0,1] op_sel_hi:[1,0,0]
	v_pk_add_f32 v[12:13], v[20:21], v[12:13]
	v_pk_fma_f32 v[26:27], v[4:5], s[4:5], v[26:27] op_sel:[0,0,1] op_sel_hi:[1,0,0] neg_lo:[0,0,1] neg_hi:[0,0,1]
	v_pk_add_f32 v[12:13], v[18:19], v[12:13]
	v_pk_add_f32 v[40:41], v[18:19], v[16:17]
	v_pk_add_f32 v[10:11], v[10:11], v[12:13]
	v_pk_add_f32 v[42:43], v[16:17], v[18:19] neg_lo:[0,1] neg_hi:[0,1]
	v_pk_add_f32 v[6:7], v[6:7], v[10:11]
	v_pk_mul_f32 v[10:11], v[8:9], s[24:25] op_sel_hi:[1,0]
	v_mov_b32_e32 v56, v54
	v_mov_b32_e32 v57, v27
	v_pk_fma_f32 v[58:59], v[28:29], s[20:21], v[32:33] op_sel:[0,0,1] op_sel_hi:[1,0,0]
	v_pk_fma_f32 v[32:33], v[28:29], s[20:21], v[32:33] op_sel:[0,0,1] op_sel_hi:[1,0,0] neg_lo:[0,0,1] neg_hi:[0,0,1]
	v_pk_fma_f32 v[12:13], v[4:5], s[16:17], v[10:11] op_sel:[0,0,1] op_sel_hi:[1,0,0]
	v_pk_fma_f32 v[10:11], v[4:5], s[16:17], v[10:11] op_sel:[0,0,1] op_sel_hi:[1,0,0] neg_lo:[0,0,1] neg_hi:[0,0,1]
	v_pk_mul_f32 v[16:17], v[30:31], s[40:41] op_sel_hi:[1,0]
	v_pk_mul_f32 v[38:39], v[36:37], s[40:41] op_sel_hi:[1,0]
	v_pk_add_f32 v[56:57], v[0:1], v[56:57]
	v_mov_b32_e32 v60, v58
	v_mov_b32_e32 v61, v33
	v_mov_b32_e32 v14, v12
	v_mov_b32_e32 v15, v11
	v_pk_fma_f32 v[18:19], v[28:29], s[22:23], v[16:17] op_sel:[0,0,1] op_sel_hi:[1,0,0]
	v_pk_fma_f32 v[16:17], v[28:29], s[22:23], v[16:17] op_sel:[0,0,1] op_sel_hi:[1,0,0] neg_lo:[0,0,1] neg_hi:[0,0,1]
	v_pk_add_f32 v[48:49], v[20:21], v[22:23]
	v_pk_add_f32 v[50:51], v[22:23], v[20:21] neg_lo:[0,1] neg_hi:[0,1]
	v_pk_add_f32 v[56:57], v[60:61], v[56:57]
	v_pk_fma_f32 v[60:61], v[34:35], s[22:23], v[38:39] op_sel:[0,0,1] op_sel_hi:[1,0,0]
	v_pk_fma_f32 v[38:39], v[34:35], s[22:23], v[38:39] op_sel:[0,0,1] op_sel_hi:[1,0,0] neg_lo:[0,0,1] neg_hi:[0,0,1]
	v_pk_add_f32 v[14:15], v[0:1], v[14:15]
	v_mov_b32_e32 v20, v18
	v_mov_b32_e32 v21, v17
	v_pk_mul_f32 v[46:47], v[42:43], s[36:37] op_sel_hi:[1,0]
	v_mov_b32_e32 v62, v60
	v_mov_b32_e32 v63, v39
	v_pk_add_f32 v[14:15], v[20:21], v[14:15]
	v_pk_mul_f32 v[20:21], v[36:37], s[34:35] op_sel_hi:[1,0]
	v_pk_add_f32 v[56:57], v[62:63], v[56:57]
	v_pk_fma_f32 v[62:63], v[40:41], s[16:17], v[46:47] op_sel:[0,0,1] op_sel_hi:[1,0,0]
	v_pk_fma_f32 v[46:47], v[40:41], s[16:17], v[46:47] op_sel:[0,0,1] op_sel_hi:[1,0,0] neg_lo:[0,0,1] neg_hi:[0,0,1]
	v_pk_fma_f32 v[22:23], v[34:35], s[4:5], v[20:21] op_sel:[0,0,1] op_sel_hi:[1,0,0]
	v_pk_fma_f32 v[20:21], v[34:35], s[4:5], v[20:21] op_sel:[0,0,1] op_sel_hi:[1,0,0] neg_lo:[0,0,1] neg_hi:[0,0,1]
	v_pk_mul_f32 v[52:53], v[50:51], s[30:31] op_sel_hi:[1,0]
	v_mov_b32_e32 v64, v62
	v_mov_b32_e32 v65, v47
	;; [unrolled: 1-line block ×4, first 2 shown]
	v_pk_add_f32 v[56:57], v[64:65], v[56:57]
	v_pk_fma_f32 v[64:65], v[48:49], s[0:1], v[52:53] op_sel:[0,0,1] op_sel_hi:[1,0,0]
	v_pk_fma_f32 v[52:53], v[48:49], s[0:1], v[52:53] op_sel:[0,0,1] op_sel_hi:[1,0,0] neg_lo:[0,0,1] neg_hi:[0,0,1]
	v_pk_add_f32 v[14:15], v[24:25], v[14:15]
	v_pk_mul_f32 v[24:25], v[42:43], s[14:15] op_sel_hi:[1,0]
	v_mov_b32_e32 v66, v64
	v_mov_b32_e32 v67, v53
	v_pk_add_f32 v[6:7], v[44:45], v[6:7]
	v_pk_fma_f32 v[44:45], v[40:41], s[0:1], v[24:25] op_sel:[0,0,1] op_sel_hi:[1,0,0]
	v_pk_fma_f32 v[24:25], v[40:41], s[0:1], v[24:25] op_sel:[0,0,1] op_sel_hi:[1,0,0] neg_lo:[0,0,1] neg_hi:[0,0,1]
	v_pk_add_f32 v[56:57], v[66:67], v[56:57]
	v_mov_b32_e32 v66, v44
	v_mov_b32_e32 v67, v25
	v_pk_add_f32 v[14:15], v[66:67], v[14:15]
	v_pk_mul_f32 v[66:67], v[50:51], s[26:27] op_sel_hi:[1,0]
	v_add_u32_e32 v11, 0x400, v122
	v_pk_fma_f32 v[68:69], v[48:49], s[20:21], v[66:67] op_sel:[0,0,1] op_sel_hi:[1,0,0]
	v_pk_fma_f32 v[66:67], v[48:49], s[20:21], v[66:67] op_sel:[0,0,1] op_sel_hi:[1,0,0] neg_lo:[0,0,1] neg_hi:[0,0,1]
	v_mov_b32_e32 v70, v68
	v_mov_b32_e32 v71, v67
	v_pk_add_f32 v[14:15], v[70:71], v[14:15]
	ds_write2_b64 v11, v[56:57], v[14:15] offset0:84 offset1:168
	v_pk_mul_f32 v[14:15], v[8:9], s[26:27] op_sel_hi:[1,0]
	v_pk_mul_f32 v[56:57], v[30:31], s[36:37] op_sel_hi:[1,0]
	v_pk_fma_f32 v[76:77], v[4:5], s[20:21], v[14:15] op_sel:[0,0,1] op_sel_hi:[1,0,0]
	v_pk_fma_f32 v[14:15], v[4:5], s[20:21], v[14:15] op_sel:[0,0,1] op_sel_hi:[1,0,0] neg_lo:[0,0,1] neg_hi:[0,0,1]
	v_mov_b32_e32 v78, v76
	v_mov_b32_e32 v79, v15
	v_pk_fma_f32 v[80:81], v[28:29], s[16:17], v[56:57] op_sel:[0,0,1] op_sel_hi:[1,0,0]
	v_pk_fma_f32 v[56:57], v[28:29], s[16:17], v[56:57] op_sel:[0,0,1] op_sel_hi:[1,0,0] neg_lo:[0,0,1] neg_hi:[0,0,1]
	v_pk_mul_f32 v[70:71], v[36:37], s[14:15] op_sel_hi:[1,0]
	v_pk_add_f32 v[78:79], v[0:1], v[78:79]
	v_mov_b32_e32 v82, v80
	v_mov_b32_e32 v83, v57
	v_pk_add_f32 v[78:79], v[82:83], v[78:79]
	v_pk_fma_f32 v[82:83], v[34:35], s[0:1], v[70:71] op_sel:[0,0,1] op_sel_hi:[1,0,0]
	v_pk_fma_f32 v[70:71], v[34:35], s[0:1], v[70:71] op_sel:[0,0,1] op_sel_hi:[1,0,0] neg_lo:[0,0,1] neg_hi:[0,0,1]
	v_pk_mul_f32 v[72:73], v[42:43], s[28:29] op_sel_hi:[1,0]
	v_mov_b32_e32 v84, v82
	v_mov_b32_e32 v85, v71
	v_pk_add_f32 v[78:79], v[84:85], v[78:79]
	v_pk_fma_f32 v[84:85], v[40:41], s[22:23], v[72:73] op_sel:[0,0,1] op_sel_hi:[1,0,0]
	v_pk_fma_f32 v[72:73], v[40:41], s[22:23], v[72:73] op_sel:[0,0,1] op_sel_hi:[1,0,0] neg_lo:[0,0,1] neg_hi:[0,0,1]
	v_pk_mul_f32 v[74:75], v[50:51], s[34:35] op_sel_hi:[1,0]
	v_mov_b32_e32 v86, v84
	v_mov_b32_e32 v87, v73
	v_pk_add_f32 v[78:79], v[86:87], v[78:79]
	v_pk_fma_f32 v[86:87], v[48:49], s[4:5], v[74:75] op_sel:[0,0,1] op_sel_hi:[1,0,0]
	v_pk_fma_f32 v[74:75], v[48:49], s[4:5], v[74:75] op_sel:[0,0,1] op_sel_hi:[1,0,0] neg_lo:[0,0,1] neg_hi:[0,0,1]
	v_mov_b32_e32 v88, v86
	v_mov_b32_e32 v89, v75
	v_pk_add_f32 v[78:79], v[88:89], v[78:79]
	v_pk_mul_f32 v[88:89], v[8:9], s[28:29] op_sel_hi:[1,0]
	v_pk_mul_f32 v[94:95], v[30:31], s[30:31] op_sel_hi:[1,0]
	v_pk_fma_f32 v[90:91], v[4:5], s[22:23], v[88:89] op_sel:[0,0,1] op_sel_hi:[1,0,0]
	v_pk_fma_f32 v[88:89], v[4:5], s[22:23], v[88:89] op_sel:[0,0,1] op_sel_hi:[1,0,0] neg_lo:[0,0,1] neg_hi:[0,0,1]
	v_mov_b32_e32 v92, v90
	v_mov_b32_e32 v93, v89
	v_pk_fma_f32 v[96:97], v[28:29], s[0:1], v[94:95] op_sel:[0,0,1] op_sel_hi:[1,0,0]
	v_pk_fma_f32 v[94:95], v[28:29], s[0:1], v[94:95] op_sel:[0,0,1] op_sel_hi:[1,0,0] neg_lo:[0,0,1] neg_hi:[0,0,1]
	v_pk_add_f32 v[92:93], v[0:1], v[92:93]
	v_mov_b32_e32 v98, v96
	v_mov_b32_e32 v99, v95
	v_pk_add_f32 v[92:93], v[98:99], v[92:93]
	v_pk_mul_f32 v[98:99], v[36:37], s[26:27] op_sel_hi:[1,0]
	v_mov_b32_e32 v89, v91
	v_pk_fma_f32 v[100:101], v[34:35], s[20:21], v[98:99] op_sel:[0,0,1] op_sel_hi:[1,0,0]
	v_pk_fma_f32 v[98:99], v[34:35], s[20:21], v[98:99] op_sel:[0,0,1] op_sel_hi:[1,0,0] neg_lo:[0,0,1] neg_hi:[0,0,1]
	v_mov_b32_e32 v102, v100
	v_mov_b32_e32 v103, v99
	v_pk_add_f32 v[92:93], v[102:103], v[92:93]
	v_pk_mul_f32 v[102:103], v[42:43], s[34:35] op_sel_hi:[1,0]
	v_mov_b32_e32 v15, v77
	v_pk_fma_f32 v[104:105], v[40:41], s[4:5], v[102:103] op_sel:[0,0,1] op_sel_hi:[1,0,0]
	v_pk_fma_f32 v[102:103], v[40:41], s[4:5], v[102:103] op_sel:[0,0,1] op_sel_hi:[1,0,0] neg_lo:[0,0,1] neg_hi:[0,0,1]
	;; [unrolled: 7-line block ×3, first 2 shown]
	v_mov_b32_e32 v110, v108
	v_mov_b32_e32 v111, v107
	v_pk_add_f32 v[92:93], v[110:111], v[92:93]
	ds_write2_b64 v2, v[78:79], v[92:93] offset0:124 offset1:208
	v_pk_add_f32 v[78:79], v[0:1], v[88:89]
	v_pk_add_f32 v[14:15], v[0:1], v[14:15]
	v_mov_b32_e32 v57, v81
	v_mov_b32_e32 v11, v13
	;; [unrolled: 1-line block ×3, first 2 shown]
	v_pk_add_f32 v[78:79], v[94:95], v[78:79]
	v_mov_b32_e32 v99, v101
	v_pk_add_f32 v[14:15], v[56:57], v[14:15]
	v_mov_b32_e32 v71, v83
	;; [unrolled: 2-line block ×12, first 2 shown]
	v_pk_add_f32 v[78:79], v[106:107], v[78:79]
	v_pk_add_f32 v[14:15], v[74:75], v[14:15]
	;; [unrolled: 1-line block ×3, first 2 shown]
	v_mov_b32_e32 v67, v69
	v_pk_add_f32 v[12:13], v[46:47], v[12:13]
	v_mov_b32_e32 v53, v65
	ds_write2_b64 v3, v[78:79], v[14:15] offset0:36 offset1:120
	v_pk_add_f32 v[10:11], v[66:67], v[10:11]
	v_pk_add_f32 v[12:13], v[52:53], v[12:13]
	v_add_u32_e32 v14, 0x1400, v122
	v_pk_mul_f32 v[8:9], v[8:9], s[14:15] op_sel_hi:[1,0]
	ds_write2_b64 v14, v[10:11], v[12:13] offset0:76 offset1:160
	v_pk_mul_f32 v[10:11], v[30:31], s[18:19] op_sel_hi:[1,0]
	v_pk_fma_f32 v[18:19], v[4:5], s[0:1], v[8:9] op_sel:[0,0,1] op_sel_hi:[1,0,0] neg_lo:[0,0,1] neg_hi:[0,0,1]
	v_pk_fma_f32 v[4:5], v[4:5], s[0:1], v[8:9] op_sel:[0,0,1] op_sel_hi:[1,0,0]
	v_mov_b32_e32 v8, v18
	v_mov_b32_e32 v9, v5
	v_pk_fma_f32 v[20:21], v[28:29], s[4:5], v[10:11] op_sel:[0,0,1] op_sel_hi:[1,0,0] neg_lo:[0,0,1] neg_hi:[0,0,1]
	v_pk_fma_f32 v[10:11], v[28:29], s[4:5], v[10:11] op_sel:[0,0,1] op_sel_hi:[1,0,0]
	v_pk_mul_f32 v[12:13], v[36:37], s[24:25] op_sel_hi:[1,0]
	v_pk_add_f32 v[8:9], v[0:1], v[8:9]
	v_mov_b32_e32 v22, v20
	v_mov_b32_e32 v23, v11
	v_pk_add_f32 v[8:9], v[22:23], v[8:9]
	v_pk_fma_f32 v[22:23], v[34:35], s[16:17], v[12:13] op_sel:[0,0,1] op_sel_hi:[1,0,0] neg_lo:[0,0,1] neg_hi:[0,0,1]
	v_pk_fma_f32 v[12:13], v[34:35], s[16:17], v[12:13] op_sel:[0,0,1] op_sel_hi:[1,0,0]
	v_pk_mul_f32 v[14:15], v[42:43], s[26:27] op_sel_hi:[1,0]
	v_mov_b32_e32 v24, v22
	v_mov_b32_e32 v25, v13
	;; [unrolled: 1-line block ×3, first 2 shown]
	v_pk_add_f32 v[8:9], v[24:25], v[8:9]
	v_pk_fma_f32 v[24:25], v[40:41], s[20:21], v[14:15] op_sel:[0,0,1] op_sel_hi:[1,0,0] neg_lo:[0,0,1] neg_hi:[0,0,1]
	v_pk_fma_f32 v[14:15], v[40:41], s[20:21], v[14:15] op_sel:[0,0,1] op_sel_hi:[1,0,0]
	v_pk_add_f32 v[0:1], v[0:1], v[4:5]
	v_mov_b32_e32 v11, v21
	v_pk_mul_f32 v[16:17], v[50:51], s[28:29] op_sel_hi:[1,0]
	v_mov_b32_e32 v26, v24
	v_mov_b32_e32 v27, v15
	v_pk_add_f32 v[0:1], v[10:11], v[0:1]
	v_mov_b32_e32 v13, v23
	v_pk_add_f32 v[8:9], v[26:27], v[8:9]
	v_pk_fma_f32 v[26:27], v[48:49], s[22:23], v[16:17] op_sel:[0,0,1] op_sel_hi:[1,0,0] neg_lo:[0,0,1] neg_hi:[0,0,1]
	v_pk_fma_f32 v[16:17], v[48:49], s[22:23], v[16:17] op_sel:[0,0,1] op_sel_hi:[1,0,0]
	v_pk_add_f32 v[0:1], v[12:13], v[0:1]
	v_mov_b32_e32 v15, v25
	v_mov_b32_e32 v29, v17
	v_pk_add_f32 v[0:1], v[14:15], v[0:1]
	v_mov_b32_e32 v17, v27
	v_mov_b32_e32 v28, v26
	v_pk_add_f32 v[0:1], v[16:17], v[0:1]
	v_pk_add_f32 v[8:9], v[28:29], v[8:9]
	ds_write2_b64 v122, v[6:7], v[0:1] offset0:44 offset1:128
	ds_write_b64 v122, v[8:9] offset:7072
.LBB0_29:
	s_or_b64 exec, exec, s[38:39]
	v_accvgpr_read_b32 v10, a20
	s_waitcnt lgkmcnt(0)
	; wave barrier
	s_waitcnt lgkmcnt(0)
	ds_read2_b64 v[4:7], v122 offset1:44
	v_mad_u64_u32 v[12:13], s[0:1], s10, v10, 0
	v_mov_b32_e32 v8, v13
	v_mad_u64_u32 v[8:9], s[0:1], s11, v10, v[8:9]
	v_accvgpr_read_b32 v10, a38
	v_accvgpr_read_b32 v11, a39
	v_mov_b32_e32 v13, v8
	s_waitcnt lgkmcnt(0)
	v_mul_f32_e32 v8, v11, v5
	v_fmac_f32_e32 v8, v10, v4
	v_mul_f32_e32 v4, v11, v4
	s_mov_b32 s0, 0x4046ed29
	v_fma_f32 v4, v10, v5, -v4
	s_mov_b32 s1, 0x3f51bb4a
	v_cvt_f64_f32_e32 v[4:5], v4
	v_cvt_f64_f32_e32 v[8:9], v8
	v_mul_f64 v[4:5], v[4:5], s[0:1]
	v_mul_f64 v[8:9], v[8:9], s[0:1]
	v_cvt_f32_f64_e32 v15, v[4:5]
	v_mad_u64_u32 v[4:5], s[2:3], s8, v144, 0
	v_cvt_f32_f64_e32 v14, v[8:9]
	v_mov_b32_e32 v8, v5
	v_mad_u64_u32 v[16:17], s[2:3], s9, v144, v[8:9]
	ds_read2_b64 v[8:11], v2 offset0:206 offset1:250
	v_mov_b32_e32 v0, s12
	v_mov_b32_e32 v1, s13
	v_lshl_add_u64 v[0:1], v[12:13], 3, v[0:1]
	v_accvgpr_read_b32 v12, a30
	v_mov_b32_e32 v5, v16
	v_accvgpr_read_b32 v13, a31
	v_lshl_add_u64 v[0:1], v[4:5], 3, v[0:1]
	s_waitcnt lgkmcnt(0)
	v_mul_f32_e32 v4, v13, v9
	v_fmac_f32_e32 v4, v12, v8
	v_cvt_f64_f32_e32 v[4:5], v4
	v_mul_f64 v[4:5], v[4:5], s[0:1]
	v_cvt_f32_f64_e32 v4, v[4:5]
	v_mul_f32_e32 v5, v13, v8
	v_fma_f32 v5, v12, v9, -v5
	v_cvt_f64_f32_e32 v[8:9], v5
	s_mul_i32 s2, s9, 0x1ce
	s_mul_hi_u32 s3, s8, 0x1ce
	v_mul_f64 v[8:9], v[8:9], s[0:1]
	s_add_i32 s3, s3, s2
	s_mul_i32 s2, s8, 0x1ce
	v_cvt_f32_f64_e32 v5, v[8:9]
	s_lshl_b64 s[10:11], s[2:3], 3
	v_accvgpr_read_b32 v8, a26
	global_store_dwordx2 v[0:1], v[14:15], off
	v_lshl_add_u64 v[0:1], v[0:1], 0, s[10:11]
	v_accvgpr_read_b32 v9, a27
	global_store_dwordx2 v[0:1], v[4:5], off
	v_mul_f32_e32 v4, v9, v7
	v_fmac_f32_e32 v4, v8, v6
	v_cvt_f64_f32_e32 v[4:5], v4
	v_mul_f64 v[4:5], v[4:5], s[0:1]
	v_cvt_f32_f64_e32 v4, v[4:5]
	v_mul_f32_e32 v5, v9, v6
	v_fma_f32 v5, v8, v7, -v5
	s_mul_hi_u32 s5, s8, 0xfffffe5e
	v_cvt_f64_f32_e32 v[6:7], v5
	s_mul_i32 s4, s9, 0xfffffe5e
	s_sub_i32 s5, s5, s8
	v_mul_f64 v[6:7], v[6:7], s[0:1]
	s_add_i32 s5, s5, s4
	s_mul_i32 s4, s8, 0xfffffe5e
	v_cvt_f32_f64_e32 v5, v[6:7]
	s_lshl_b64 s[8:9], s[4:5], 3
	v_accvgpr_read_b32 v6, a24
	v_lshl_add_u64 v[0:1], v[0:1], 0, s[8:9]
	v_accvgpr_read_b32 v7, a25
	global_store_dwordx2 v[0:1], v[4:5], off
	v_mul_f32_e32 v4, v7, v11
	v_fmac_f32_e32 v4, v6, v10
	v_cvt_f64_f32_e32 v[4:5], v4
	v_mul_f64 v[4:5], v[4:5], s[0:1]
	v_cvt_f32_f64_e32 v8, v[4:5]
	v_mul_f32_e32 v4, v7, v10
	v_fma_f32 v4, v6, v11, -v4
	v_cvt_f64_f32_e32 v[10:11], v4
	ds_read2_b64 v[4:7], v122 offset0:88 offset1:132
	v_mul_f64 v[10:11], v[10:11], s[0:1]
	v_cvt_f32_f64_e32 v9, v[10:11]
	v_accvgpr_read_b32 v10, a22
	v_lshl_add_u64 v[0:1], v[0:1], 0, s[10:11]
	v_accvgpr_read_b32 v11, a23
	global_store_dwordx2 v[0:1], v[8:9], off
	s_waitcnt lgkmcnt(0)
	v_mul_f32_e32 v8, v11, v5
	v_fmac_f32_e32 v8, v10, v4
	v_cvt_f64_f32_e32 v[8:9], v8
	v_mul_f32_e32 v4, v11, v4
	v_mul_f64 v[8:9], v[8:9], s[0:1]
	v_fma_f32 v4, v10, v5, -v4
	v_cvt_f32_f64_e32 v12, v[8:9]
	v_cvt_f64_f32_e32 v[4:5], v4
	ds_read2_b64 v[8:11], v3 offset0:38 offset1:82
	v_mul_f64 v[4:5], v[4:5], s[0:1]
	v_cvt_f32_f64_e32 v13, v[4:5]
	v_lshl_add_u64 v[0:1], v[0:1], 0, s[8:9]
	global_store_dwordx2 v[0:1], v[12:13], off
	v_accvgpr_read_b32 v12, a16
	v_accvgpr_read_b32 v13, a17
	s_waitcnt lgkmcnt(0)
	v_mul_f32_e32 v4, v13, v9
	v_fmac_f32_e32 v4, v12, v8
	v_cvt_f64_f32_e32 v[4:5], v4
	v_mul_f64 v[4:5], v[4:5], s[0:1]
	v_cvt_f32_f64_e32 v4, v[4:5]
	v_mul_f32_e32 v5, v13, v8
	v_fma_f32 v5, v12, v9, -v5
	v_cvt_f64_f32_e32 v[8:9], v5
	v_mul_f64 v[8:9], v[8:9], s[0:1]
	v_cvt_f32_f64_e32 v5, v[8:9]
	v_accvgpr_read_b32 v8, a12
	v_lshl_add_u64 v[0:1], v[0:1], 0, s[10:11]
	v_accvgpr_read_b32 v9, a13
	global_store_dwordx2 v[0:1], v[4:5], off
	v_mul_f32_e32 v4, v9, v7
	v_fmac_f32_e32 v4, v8, v6
	v_cvt_f64_f32_e32 v[4:5], v4
	v_mul_f64 v[4:5], v[4:5], s[0:1]
	v_cvt_f32_f64_e32 v4, v[4:5]
	v_mul_f32_e32 v5, v9, v6
	v_fma_f32 v5, v8, v7, -v5
	v_cvt_f64_f32_e32 v[6:7], v5
	v_mul_f64 v[6:7], v[6:7], s[0:1]
	v_cvt_f32_f64_e32 v5, v[6:7]
	v_accvgpr_read_b32 v6, a8
	v_lshl_add_u64 v[0:1], v[0:1], 0, s[8:9]
	v_accvgpr_read_b32 v7, a9
	global_store_dwordx2 v[0:1], v[4:5], off
	v_mul_f32_e32 v4, v7, v11
	v_fmac_f32_e32 v4, v6, v10
	v_cvt_f64_f32_e32 v[4:5], v4
	v_mul_f64 v[4:5], v[4:5], s[0:1]
	v_cvt_f32_f64_e32 v8, v[4:5]
	v_mul_f32_e32 v4, v7, v10
	v_fma_f32 v4, v6, v11, -v4
	v_cvt_f64_f32_e32 v[10:11], v4
	ds_read2_b64 v[4:7], v122 offset0:176 offset1:220
	v_mul_f64 v[10:11], v[10:11], s[0:1]
	v_cvt_f32_f64_e32 v9, v[10:11]
	v_accvgpr_read_b32 v10, a44
	v_lshl_add_u64 v[0:1], v[0:1], 0, s[10:11]
	v_accvgpr_read_b32 v11, a45
	global_store_dwordx2 v[0:1], v[8:9], off
	s_waitcnt lgkmcnt(0)
	v_mul_f32_e32 v8, v11, v5
	v_fmac_f32_e32 v8, v10, v4
	v_cvt_f64_f32_e32 v[8:9], v8
	v_mul_f64 v[8:9], v[8:9], s[0:1]
	v_mul_f32_e32 v4, v11, v4
	v_cvt_f32_f64_e32 v12, v[8:9]
	v_fma_f32 v4, v10, v5, -v4
	ds_read2_b64 v[8:11], v3 offset0:126 offset1:170
	v_cvt_f64_f32_e32 v[4:5], v4
	v_mul_f64 v[4:5], v[4:5], s[0:1]
	v_cvt_f32_f64_e32 v13, v[4:5]
	v_lshl_add_u64 v[0:1], v[0:1], 0, s[8:9]
	global_store_dwordx2 v[0:1], v[12:13], off
	v_accvgpr_read_b32 v13, a5
	v_accvgpr_read_b32 v12, a4
	s_waitcnt lgkmcnt(0)
	v_mul_f32_e32 v3, v13, v9
	v_fmac_f32_e32 v3, v12, v8
	v_cvt_f64_f32_e32 v[4:5], v3
	v_mul_f32_e32 v3, v13, v8
	v_fma_f32 v3, v12, v9, -v3
	v_cvt_f64_f32_e32 v[8:9], v3
	v_mul_f64 v[4:5], v[4:5], s[0:1]
	v_mul_f64 v[8:9], v[8:9], s[0:1]
	v_cvt_f32_f64_e32 v4, v[4:5]
	v_cvt_f32_f64_e32 v5, v[8:9]
	v_accvgpr_read_b32 v8, a42
	v_accvgpr_read_b32 v9, a43
	v_mul_f32_e32 v3, v9, v7
	v_lshl_add_u64 v[0:1], v[0:1], 0, s[10:11]
	v_fmac_f32_e32 v3, v8, v6
	global_store_dwordx2 v[0:1], v[4:5], off
	v_cvt_f64_f32_e32 v[4:5], v3
	v_mul_f32_e32 v3, v9, v6
	v_fma_f32 v3, v8, v7, -v3
	v_cvt_f64_f32_e32 v[6:7], v3
	v_mul_f64 v[4:5], v[4:5], s[0:1]
	v_mul_f64 v[6:7], v[6:7], s[0:1]
	v_cvt_f32_f64_e32 v4, v[4:5]
	v_cvt_f32_f64_e32 v5, v[6:7]
	v_accvgpr_read_b32 v6, a40
	v_accvgpr_read_b32 v7, a41
	v_mul_f32_e32 v3, v7, v11
	v_lshl_add_u64 v[0:1], v[0:1], 0, s[8:9]
	v_fmac_f32_e32 v3, v6, v10
	global_store_dwordx2 v[0:1], v[4:5], off
	v_cvt_f64_f32_e32 v[4:5], v3
	v_mul_f64 v[4:5], v[4:5], s[0:1]
	v_mul_f32_e32 v3, v7, v10
	v_cvt_f32_f64_e32 v8, v[4:5]
	v_fma_f32 v3, v6, v11, -v3
	ds_read2_b64 v[4:7], v2 offset0:8 offset1:52
	v_cvt_f64_f32_e32 v[10:11], v3
	v_mul_f64 v[10:11], v[10:11], s[0:1]
	v_cvt_f32_f64_e32 v9, v[10:11]
	v_accvgpr_read_b32 v10, a36
	v_accvgpr_read_b32 v11, a37
	s_waitcnt lgkmcnt(0)
	v_mul_f32_e32 v3, v11, v5
	v_lshl_add_u64 v[0:1], v[0:1], 0, s[10:11]
	v_fmac_f32_e32 v3, v10, v4
	global_store_dwordx2 v[0:1], v[8:9], off
	v_cvt_f64_f32_e32 v[8:9], v3
	v_mul_f32_e32 v3, v11, v4
	v_fma_f32 v3, v10, v5, -v3
	v_mul_f64 v[8:9], v[8:9], s[0:1]
	v_cvt_f64_f32_e32 v[4:5], v3
	v_add_u32_e32 v3, 0x1400, v122
	v_cvt_f32_f64_e32 v12, v[8:9]
	ds_read2_b64 v[8:11], v3 offset0:86 offset1:130
	v_mul_f64 v[4:5], v[4:5], s[0:1]
	v_cvt_f32_f64_e32 v13, v[4:5]
	v_lshl_add_u64 v[0:1], v[0:1], 0, s[8:9]
	global_store_dwordx2 v[0:1], v[12:13], off
	v_accvgpr_read_b32 v12, a34
	v_accvgpr_read_b32 v13, a35
	s_waitcnt lgkmcnt(0)
	v_mul_f32_e32 v3, v13, v9
	v_fmac_f32_e32 v3, v12, v8
	v_cvt_f64_f32_e32 v[4:5], v3
	v_mul_f32_e32 v3, v13, v8
	v_fma_f32 v3, v12, v9, -v3
	v_cvt_f64_f32_e32 v[8:9], v3
	v_mul_f64 v[4:5], v[4:5], s[0:1]
	v_mul_f64 v[8:9], v[8:9], s[0:1]
	v_cvt_f32_f64_e32 v4, v[4:5]
	v_cvt_f32_f64_e32 v5, v[8:9]
	v_accvgpr_read_b32 v8, a32
	v_accvgpr_read_b32 v9, a33
	v_mul_f32_e32 v3, v9, v7
	v_lshl_add_u64 v[0:1], v[0:1], 0, s[10:11]
	v_fmac_f32_e32 v3, v8, v6
	global_store_dwordx2 v[0:1], v[4:5], off
	v_cvt_f64_f32_e32 v[4:5], v3
	v_mul_f32_e32 v3, v9, v6
	v_fma_f32 v3, v8, v7, -v3
	v_cvt_f64_f32_e32 v[6:7], v3
	v_accvgpr_read_b32 v8, a28
	v_mul_f64 v[4:5], v[4:5], s[0:1]
	v_mul_f64 v[6:7], v[6:7], s[0:1]
	v_accvgpr_read_b32 v9, a29
	v_cvt_f32_f64_e32 v4, v[4:5]
	v_cvt_f32_f64_e32 v5, v[6:7]
	v_lshl_add_u64 v[6:7], v[0:1], 0, s[8:9]
	v_mul_f32_e32 v0, v9, v11
	v_fmac_f32_e32 v0, v8, v10
	v_cvt_f64_f32_e32 v[0:1], v0
	v_mul_f64 v[0:1], v[0:1], s[0:1]
	global_store_dwordx2 v[6:7], v[4:5], off
	v_cvt_f32_f64_e32 v4, v[0:1]
	v_mul_f32_e32 v0, v9, v10
	v_fma_f32 v0, v8, v11, -v0
	v_cvt_f64_f32_e32 v[8:9], v0
	ds_read2_b64 v[0:3], v2 offset0:96 offset1:140
	v_mul_f64 v[8:9], v[8:9], s[0:1]
	v_cvt_f32_f64_e32 v5, v[8:9]
	v_lshl_add_u64 v[8:9], v[6:7], 0, s[10:11]
	v_accvgpr_read_b32 v6, a10
	v_accvgpr_read_b32 v7, a11
	global_store_dwordx2 v[8:9], v[4:5], off
	s_waitcnt lgkmcnt(0)
	v_mul_f32_e32 v4, v7, v1
	v_fmac_f32_e32 v4, v6, v0
	v_cvt_f64_f32_e32 v[4:5], v4
	v_mul_f64 v[4:5], v[4:5], s[0:1]
	v_mul_f32_e32 v0, v7, v0
	v_cvt_f32_f64_e32 v10, v[4:5]
	v_fma_f32 v0, v6, v1, -v0
	v_add_u32_e32 v4, 0x1800, v122
	v_cvt_f64_f32_e32 v[0:1], v0
	ds_read2_b64 v[4:7], v4 offset0:46 offset1:90
	v_mul_f64 v[0:1], v[0:1], s[0:1]
	v_cvt_f32_f64_e32 v11, v[0:1]
	v_lshl_add_u64 v[0:1], v[8:9], 0, s[8:9]
	global_store_dwordx2 v[0:1], v[10:11], off
	v_accvgpr_read_b32 v10, a18
	v_accvgpr_read_b32 v11, a19
	s_waitcnt lgkmcnt(0)
	v_mul_f32_e32 v8, v11, v5
	v_fmac_f32_e32 v8, v10, v4
	v_mul_f32_e32 v4, v11, v4
	v_fma_f32 v4, v10, v5, -v4
	v_cvt_f64_f32_e32 v[8:9], v8
	v_cvt_f64_f32_e32 v[4:5], v4
	v_mul_f64 v[8:9], v[8:9], s[0:1]
	v_mul_f64 v[4:5], v[4:5], s[0:1]
	v_cvt_f32_f64_e32 v8, v[8:9]
	v_cvt_f32_f64_e32 v9, v[4:5]
	v_lshl_add_u64 v[0:1], v[0:1], 0, s[10:11]
	global_store_dwordx2 v[0:1], v[8:9], off
	v_accvgpr_read_b32 v9, a3
	v_accvgpr_read_b32 v8, a2
	v_mul_f32_e32 v4, v9, v3
	v_fmac_f32_e32 v4, v8, v2
	v_mul_f32_e32 v2, v9, v2
	v_fma_f32 v2, v8, v3, -v2
	v_cvt_f64_f32_e32 v[4:5], v4
	v_cvt_f64_f32_e32 v[2:3], v2
	v_mul_f64 v[4:5], v[4:5], s[0:1]
	v_mul_f64 v[2:3], v[2:3], s[0:1]
	v_cvt_f32_f64_e32 v4, v[4:5]
	v_cvt_f32_f64_e32 v5, v[2:3]
	v_lshl_add_u64 v[0:1], v[0:1], 0, s[8:9]
	global_store_dwordx2 v[0:1], v[4:5], off
	v_accvgpr_read_b32 v4, a14
	v_accvgpr_read_b32 v5, a15
	v_mul_f32_e32 v2, v5, v7
	v_fmac_f32_e32 v2, v4, v6
	v_cvt_f64_f32_e32 v[2:3], v2
	v_mul_f64 v[2:3], v[2:3], s[0:1]
	v_cvt_f32_f64_e32 v2, v[2:3]
	v_mul_f32_e32 v3, v5, v6
	v_fma_f32 v3, v4, v7, -v3
	v_cvt_f64_f32_e32 v[4:5], v3
	v_mul_f64 v[4:5], v[4:5], s[0:1]
	v_cvt_f32_f64_e32 v3, v[4:5]
	v_lshl_add_u64 v[0:1], v[0:1], 0, s[10:11]
	global_store_dwordx2 v[0:1], v[2:3], off
	s_and_b64 exec, exec, s[6:7]
	s_cbranch_execz .LBB0_31
; %bb.30:
	v_accvgpr_read_b32 v9, a1
	v_accvgpr_read_b32 v8, a0
	global_load_dwordx2 v[2:3], v[8:9], off offset:3520
	ds_read_b64 v[4:5], v122 offset:3520
	ds_read_b64 v[6:7], v122 offset:7216
	v_lshl_add_u64 v[0:1], s[4:5], 3, v[0:1]
	s_movk_i32 s4, 0x1000
	v_add_co_u32_e32 v8, vcc, s4, v8
	s_waitcnt vmcnt(0) lgkmcnt(1)
	v_mul_f32_e32 v10, v5, v3
	v_mul_f32_e32 v3, v4, v3
	v_fmac_f32_e32 v10, v4, v2
	v_fma_f32 v4, v2, v5, -v3
	v_cvt_f64_f32_e32 v[2:3], v10
	v_cvt_f64_f32_e32 v[4:5], v4
	v_mul_f64 v[2:3], v[2:3], s[0:1]
	v_mul_f64 v[4:5], v[4:5], s[0:1]
	v_cvt_f32_f64_e32 v2, v[2:3]
	v_cvt_f32_f64_e32 v3, v[4:5]
	v_addc_co_u32_e32 v9, vcc, 0, v9, vcc
	global_store_dwordx2 v[0:1], v[2:3], off
	global_load_dwordx2 v[2:3], v[8:9], off offset:3120
	v_lshl_add_u64 v[0:1], s[2:3], 3, v[0:1]
	s_waitcnt vmcnt(0) lgkmcnt(0)
	v_mul_f32_e32 v4, v7, v3
	v_mul_f32_e32 v3, v6, v3
	v_fmac_f32_e32 v4, v6, v2
	v_fma_f32 v5, v2, v7, -v3
	v_cvt_f64_f32_e32 v[2:3], v4
	v_cvt_f64_f32_e32 v[4:5], v5
	v_mul_f64 v[2:3], v[2:3], s[0:1]
	v_mul_f64 v[4:5], v[4:5], s[0:1]
	v_cvt_f32_f64_e32 v2, v[2:3]
	v_cvt_f32_f64_e32 v3, v[4:5]
	global_store_dwordx2 v[0:1], v[2:3], off
.LBB0_31:
	s_endpgm
	.section	.rodata,"a",@progbits
	.p2align	6, 0x0
	.amdhsa_kernel bluestein_single_back_len924_dim1_sp_op_CI_CI
		.amdhsa_group_segment_fixed_size 7392
		.amdhsa_private_segment_fixed_size 0
		.amdhsa_kernarg_size 104
		.amdhsa_user_sgpr_count 2
		.amdhsa_user_sgpr_dispatch_ptr 0
		.amdhsa_user_sgpr_queue_ptr 0
		.amdhsa_user_sgpr_kernarg_segment_ptr 1
		.amdhsa_user_sgpr_dispatch_id 0
		.amdhsa_user_sgpr_kernarg_preload_length 0
		.amdhsa_user_sgpr_kernarg_preload_offset 0
		.amdhsa_user_sgpr_private_segment_size 0
		.amdhsa_uses_dynamic_stack 0
		.amdhsa_enable_private_segment 0
		.amdhsa_system_sgpr_workgroup_id_x 1
		.amdhsa_system_sgpr_workgroup_id_y 0
		.amdhsa_system_sgpr_workgroup_id_z 0
		.amdhsa_system_sgpr_workgroup_info 0
		.amdhsa_system_vgpr_workitem_id 0
		.amdhsa_next_free_vgpr 381
		.amdhsa_next_free_sgpr 52
		.amdhsa_accum_offset 256
		.amdhsa_reserve_vcc 1
		.amdhsa_float_round_mode_32 0
		.amdhsa_float_round_mode_16_64 0
		.amdhsa_float_denorm_mode_32 3
		.amdhsa_float_denorm_mode_16_64 3
		.amdhsa_dx10_clamp 1
		.amdhsa_ieee_mode 1
		.amdhsa_fp16_overflow 0
		.amdhsa_tg_split 0
		.amdhsa_exception_fp_ieee_invalid_op 0
		.amdhsa_exception_fp_denorm_src 0
		.amdhsa_exception_fp_ieee_div_zero 0
		.amdhsa_exception_fp_ieee_overflow 0
		.amdhsa_exception_fp_ieee_underflow 0
		.amdhsa_exception_fp_ieee_inexact 0
		.amdhsa_exception_int_div_zero 0
	.end_amdhsa_kernel
	.text
.Lfunc_end0:
	.size	bluestein_single_back_len924_dim1_sp_op_CI_CI, .Lfunc_end0-bluestein_single_back_len924_dim1_sp_op_CI_CI
                                        ; -- End function
	.section	.AMDGPU.csdata,"",@progbits
; Kernel info:
; codeLenInByte = 26464
; NumSgprs: 58
; NumVgprs: 256
; NumAgprs: 125
; TotalNumVgprs: 381
; ScratchSize: 0
; MemoryBound: 0
; FloatMode: 240
; IeeeMode: 1
; LDSByteSize: 7392 bytes/workgroup (compile time only)
; SGPRBlocks: 7
; VGPRBlocks: 47
; NumSGPRsForWavesPerEU: 58
; NumVGPRsForWavesPerEU: 381
; AccumOffset: 256
; Occupancy: 1
; WaveLimiterHint : 1
; COMPUTE_PGM_RSRC2:SCRATCH_EN: 0
; COMPUTE_PGM_RSRC2:USER_SGPR: 2
; COMPUTE_PGM_RSRC2:TRAP_HANDLER: 0
; COMPUTE_PGM_RSRC2:TGID_X_EN: 1
; COMPUTE_PGM_RSRC2:TGID_Y_EN: 0
; COMPUTE_PGM_RSRC2:TGID_Z_EN: 0
; COMPUTE_PGM_RSRC2:TIDIG_COMP_CNT: 0
; COMPUTE_PGM_RSRC3_GFX90A:ACCUM_OFFSET: 63
; COMPUTE_PGM_RSRC3_GFX90A:TG_SPLIT: 0
	.text
	.p2alignl 6, 3212836864
	.fill 256, 4, 3212836864
	.type	__hip_cuid_3b7dd58f11c8b4c7,@object ; @__hip_cuid_3b7dd58f11c8b4c7
	.section	.bss,"aw",@nobits
	.globl	__hip_cuid_3b7dd58f11c8b4c7
__hip_cuid_3b7dd58f11c8b4c7:
	.byte	0                               ; 0x0
	.size	__hip_cuid_3b7dd58f11c8b4c7, 1

	.ident	"AMD clang version 19.0.0git (https://github.com/RadeonOpenCompute/llvm-project roc-6.4.0 25133 c7fe45cf4b819c5991fe208aaa96edf142730f1d)"
	.section	".note.GNU-stack","",@progbits
	.addrsig
	.addrsig_sym __hip_cuid_3b7dd58f11c8b4c7
	.amdgpu_metadata
---
amdhsa.kernels:
  - .agpr_count:     125
    .args:
      - .actual_access:  read_only
        .address_space:  global
        .offset:         0
        .size:           8
        .value_kind:     global_buffer
      - .actual_access:  read_only
        .address_space:  global
        .offset:         8
        .size:           8
        .value_kind:     global_buffer
      - .actual_access:  read_only
        .address_space:  global
        .offset:         16
        .size:           8
        .value_kind:     global_buffer
      - .actual_access:  read_only
        .address_space:  global
        .offset:         24
        .size:           8
        .value_kind:     global_buffer
      - .actual_access:  read_only
        .address_space:  global
        .offset:         32
        .size:           8
        .value_kind:     global_buffer
      - .offset:         40
        .size:           8
        .value_kind:     by_value
      - .address_space:  global
        .offset:         48
        .size:           8
        .value_kind:     global_buffer
      - .address_space:  global
        .offset:         56
        .size:           8
        .value_kind:     global_buffer
      - .address_space:  global
        .offset:         64
        .size:           8
        .value_kind:     global_buffer
      - .address_space:  global
        .offset:         72
        .size:           8
        .value_kind:     global_buffer
      - .offset:         80
        .size:           4
        .value_kind:     by_value
      - .address_space:  global
        .offset:         88
        .size:           8
        .value_kind:     global_buffer
      - .address_space:  global
        .offset:         96
        .size:           8
        .value_kind:     global_buffer
    .group_segment_fixed_size: 7392
    .kernarg_segment_align: 8
    .kernarg_segment_size: 104
    .language:       OpenCL C
    .language_version:
      - 2
      - 0
    .max_flat_workgroup_size: 44
    .name:           bluestein_single_back_len924_dim1_sp_op_CI_CI
    .private_segment_fixed_size: 0
    .sgpr_count:     58
    .sgpr_spill_count: 0
    .symbol:         bluestein_single_back_len924_dim1_sp_op_CI_CI.kd
    .uniform_work_group_size: 1
    .uses_dynamic_stack: false
    .vgpr_count:     381
    .vgpr_spill_count: 0
    .wavefront_size: 64
amdhsa.target:   amdgcn-amd-amdhsa--gfx950
amdhsa.version:
  - 1
  - 2
...

	.end_amdgpu_metadata
